;; amdgpu-corpus repo=ROCm/rocFFT kind=compiled arch=gfx1030 opt=O3
	.text
	.amdgcn_target "amdgcn-amd-amdhsa--gfx1030"
	.amdhsa_code_object_version 6
	.protected	fft_rtc_fwd_len1188_factors_6_11_2_3_3_wgs_198_tpt_66_halfLds_half_ip_CI_unitstride_sbrr_C2R_dirReg ; -- Begin function fft_rtc_fwd_len1188_factors_6_11_2_3_3_wgs_198_tpt_66_halfLds_half_ip_CI_unitstride_sbrr_C2R_dirReg
	.globl	fft_rtc_fwd_len1188_factors_6_11_2_3_3_wgs_198_tpt_66_halfLds_half_ip_CI_unitstride_sbrr_C2R_dirReg
	.p2align	8
	.type	fft_rtc_fwd_len1188_factors_6_11_2_3_3_wgs_198_tpt_66_halfLds_half_ip_CI_unitstride_sbrr_C2R_dirReg,@function
fft_rtc_fwd_len1188_factors_6_11_2_3_3_wgs_198_tpt_66_halfLds_half_ip_CI_unitstride_sbrr_C2R_dirReg: ; @fft_rtc_fwd_len1188_factors_6_11_2_3_3_wgs_198_tpt_66_halfLds_half_ip_CI_unitstride_sbrr_C2R_dirReg
; %bb.0:
	s_load_dwordx4 s[8:11], s[4:5], 0x0
	v_mul_u32_u24_e32 v1, 0x3e1, v0
	s_clause 0x1
	s_load_dwordx2 s[2:3], s[4:5], 0x50
	s_load_dwordx2 s[12:13], s[4:5], 0x18
	v_mov_b32_e32 v5, 0
	v_mov_b32_e32 v3, 0
	;; [unrolled: 1-line block ×3, first 2 shown]
	v_lshrrev_b32_e32 v1, 16, v1
	v_mad_u64_u32 v[1:2], null, s6, 3, v[1:2]
	v_mov_b32_e32 v2, v5
	v_mov_b32_e32 v10, v2
	;; [unrolled: 1-line block ×3, first 2 shown]
	s_waitcnt lgkmcnt(0)
	v_cmp_lt_u64_e64 s0, s[10:11], 2
	s_and_b32 vcc_lo, exec_lo, s0
	s_cbranch_vccnz .LBB0_8
; %bb.1:
	s_load_dwordx2 s[0:1], s[4:5], 0x10
	v_mov_b32_e32 v3, 0
	v_mov_b32_e32 v8, v2
	s_add_u32 s6, s12, 8
	v_mov_b32_e32 v4, 0
	v_mov_b32_e32 v7, v1
	s_addc_u32 s7, s13, 0
	s_mov_b64 s[16:17], 1
	s_waitcnt lgkmcnt(0)
	s_add_u32 s14, s0, 8
	s_addc_u32 s15, s1, 0
.LBB0_2:                                ; =>This Inner Loop Header: Depth=1
	s_load_dwordx2 s[18:19], s[14:15], 0x0
                                        ; implicit-def: $vgpr9_vgpr10
	s_mov_b32 s0, exec_lo
	s_waitcnt lgkmcnt(0)
	v_or_b32_e32 v6, s19, v8
	v_cmpx_ne_u64_e32 0, v[5:6]
	s_xor_b32 s1, exec_lo, s0
	s_cbranch_execz .LBB0_4
; %bb.3:                                ;   in Loop: Header=BB0_2 Depth=1
	v_cvt_f32_u32_e32 v2, s18
	v_cvt_f32_u32_e32 v6, s19
	s_sub_u32 s0, 0, s18
	s_subb_u32 s20, 0, s19
	v_fmac_f32_e32 v2, 0x4f800000, v6
	v_rcp_f32_e32 v2, v2
	v_mul_f32_e32 v2, 0x5f7ffffc, v2
	v_mul_f32_e32 v6, 0x2f800000, v2
	v_trunc_f32_e32 v6, v6
	v_fmac_f32_e32 v2, 0xcf800000, v6
	v_cvt_u32_f32_e32 v6, v6
	v_cvt_u32_f32_e32 v2, v2
	v_mul_lo_u32 v9, s0, v6
	v_mul_hi_u32 v10, s0, v2
	v_mul_lo_u32 v11, s20, v2
	v_add_nc_u32_e32 v9, v10, v9
	v_mul_lo_u32 v10, s0, v2
	v_add_nc_u32_e32 v9, v9, v11
	v_mul_hi_u32 v11, v2, v10
	v_mul_lo_u32 v12, v2, v9
	v_mul_hi_u32 v13, v2, v9
	v_mul_hi_u32 v14, v6, v10
	v_mul_lo_u32 v10, v6, v10
	v_mul_hi_u32 v15, v6, v9
	v_mul_lo_u32 v9, v6, v9
	v_add_co_u32 v11, vcc_lo, v11, v12
	v_add_co_ci_u32_e32 v12, vcc_lo, 0, v13, vcc_lo
	v_add_co_u32 v10, vcc_lo, v11, v10
	v_add_co_ci_u32_e32 v10, vcc_lo, v12, v14, vcc_lo
	v_add_co_ci_u32_e32 v11, vcc_lo, 0, v15, vcc_lo
	v_add_co_u32 v9, vcc_lo, v10, v9
	v_add_co_ci_u32_e32 v10, vcc_lo, 0, v11, vcc_lo
	v_add_co_u32 v2, vcc_lo, v2, v9
	v_add_co_ci_u32_e32 v6, vcc_lo, v6, v10, vcc_lo
	v_mul_hi_u32 v9, s0, v2
	v_mul_lo_u32 v11, s20, v2
	v_mul_lo_u32 v10, s0, v6
	v_add_nc_u32_e32 v9, v9, v10
	v_mul_lo_u32 v10, s0, v2
	v_add_nc_u32_e32 v9, v9, v11
	v_mul_hi_u32 v11, v2, v10
	v_mul_lo_u32 v12, v2, v9
	v_mul_hi_u32 v13, v2, v9
	v_mul_hi_u32 v14, v6, v10
	v_mul_lo_u32 v10, v6, v10
	v_mul_hi_u32 v15, v6, v9
	v_mul_lo_u32 v9, v6, v9
	v_add_co_u32 v11, vcc_lo, v11, v12
	v_add_co_ci_u32_e32 v12, vcc_lo, 0, v13, vcc_lo
	v_add_co_u32 v10, vcc_lo, v11, v10
	v_add_co_ci_u32_e32 v10, vcc_lo, v12, v14, vcc_lo
	v_add_co_ci_u32_e32 v11, vcc_lo, 0, v15, vcc_lo
	v_add_co_u32 v9, vcc_lo, v10, v9
	v_add_co_ci_u32_e32 v10, vcc_lo, 0, v11, vcc_lo
	v_add_co_u32 v2, vcc_lo, v2, v9
	v_add_co_ci_u32_e32 v6, vcc_lo, v6, v10, vcc_lo
	v_mul_hi_u32 v15, v7, v2
	v_mad_u64_u32 v[11:12], null, v8, v2, 0
	v_mad_u64_u32 v[9:10], null, v7, v6, 0
	v_mad_u64_u32 v[13:14], null, v8, v6, 0
	v_add_co_u32 v2, vcc_lo, v15, v9
	v_add_co_ci_u32_e32 v6, vcc_lo, 0, v10, vcc_lo
	v_add_co_u32 v2, vcc_lo, v2, v11
	v_add_co_ci_u32_e32 v2, vcc_lo, v6, v12, vcc_lo
	v_add_co_ci_u32_e32 v6, vcc_lo, 0, v14, vcc_lo
	v_add_co_u32 v2, vcc_lo, v2, v13
	v_add_co_ci_u32_e32 v6, vcc_lo, 0, v6, vcc_lo
	v_mul_lo_u32 v11, s19, v2
	v_mad_u64_u32 v[9:10], null, s18, v2, 0
	v_mul_lo_u32 v12, s18, v6
	v_sub_co_u32 v9, vcc_lo, v7, v9
	v_add3_u32 v10, v10, v12, v11
	v_sub_nc_u32_e32 v11, v8, v10
	v_subrev_co_ci_u32_e64 v11, s0, s19, v11, vcc_lo
	v_add_co_u32 v12, s0, v2, 2
	v_add_co_ci_u32_e64 v13, s0, 0, v6, s0
	v_sub_co_u32 v14, s0, v9, s18
	v_sub_co_ci_u32_e32 v10, vcc_lo, v8, v10, vcc_lo
	v_subrev_co_ci_u32_e64 v11, s0, 0, v11, s0
	v_cmp_le_u32_e32 vcc_lo, s18, v14
	v_cmp_eq_u32_e64 s0, s19, v10
	v_cndmask_b32_e64 v14, 0, -1, vcc_lo
	v_cmp_le_u32_e32 vcc_lo, s19, v11
	v_cndmask_b32_e64 v15, 0, -1, vcc_lo
	v_cmp_le_u32_e32 vcc_lo, s18, v9
	;; [unrolled: 2-line block ×3, first 2 shown]
	v_cndmask_b32_e64 v16, 0, -1, vcc_lo
	v_cmp_eq_u32_e32 vcc_lo, s19, v11
	v_cndmask_b32_e64 v9, v16, v9, s0
	v_cndmask_b32_e32 v11, v15, v14, vcc_lo
	v_add_co_u32 v14, vcc_lo, v2, 1
	v_add_co_ci_u32_e32 v15, vcc_lo, 0, v6, vcc_lo
	v_cmp_ne_u32_e32 vcc_lo, 0, v11
	v_cndmask_b32_e32 v10, v15, v13, vcc_lo
	v_cndmask_b32_e32 v11, v14, v12, vcc_lo
	v_cmp_ne_u32_e32 vcc_lo, 0, v9
	v_cndmask_b32_e32 v10, v6, v10, vcc_lo
	v_cndmask_b32_e32 v9, v2, v11, vcc_lo
.LBB0_4:                                ;   in Loop: Header=BB0_2 Depth=1
	s_andn2_saveexec_b32 s0, s1
	s_cbranch_execz .LBB0_6
; %bb.5:                                ;   in Loop: Header=BB0_2 Depth=1
	v_cvt_f32_u32_e32 v2, s18
	s_sub_i32 s1, 0, s18
	v_rcp_iflag_f32_e32 v2, v2
	v_mul_f32_e32 v2, 0x4f7ffffe, v2
	v_cvt_u32_f32_e32 v2, v2
	v_mul_lo_u32 v6, s1, v2
	v_mul_hi_u32 v6, v2, v6
	v_add_nc_u32_e32 v2, v2, v6
	v_mul_hi_u32 v2, v7, v2
	v_mul_lo_u32 v6, v2, s18
	v_add_nc_u32_e32 v9, 1, v2
	v_sub_nc_u32_e32 v6, v7, v6
	v_subrev_nc_u32_e32 v10, s18, v6
	v_cmp_le_u32_e32 vcc_lo, s18, v6
	v_cndmask_b32_e32 v6, v6, v10, vcc_lo
	v_cndmask_b32_e32 v2, v2, v9, vcc_lo
	v_mov_b32_e32 v10, v5
	v_cmp_le_u32_e32 vcc_lo, s18, v6
	v_add_nc_u32_e32 v9, 1, v2
	v_cndmask_b32_e32 v9, v2, v9, vcc_lo
.LBB0_6:                                ;   in Loop: Header=BB0_2 Depth=1
	s_or_b32 exec_lo, exec_lo, s0
	s_load_dwordx2 s[0:1], s[6:7], 0x0
	v_mul_lo_u32 v2, v10, s18
	v_mul_lo_u32 v6, v9, s19
	v_mad_u64_u32 v[11:12], null, v9, s18, 0
	s_add_u32 s16, s16, 1
	s_addc_u32 s17, s17, 0
	s_add_u32 s6, s6, 8
	s_addc_u32 s7, s7, 0
	;; [unrolled: 2-line block ×3, first 2 shown]
	v_add3_u32 v2, v12, v6, v2
	v_sub_co_u32 v6, vcc_lo, v7, v11
	v_sub_co_ci_u32_e32 v2, vcc_lo, v8, v2, vcc_lo
	s_waitcnt lgkmcnt(0)
	v_mul_lo_u32 v7, s1, v6
	v_mul_lo_u32 v2, s0, v2
	v_mad_u64_u32 v[3:4], null, s0, v6, v[3:4]
	v_cmp_ge_u64_e64 s0, s[16:17], s[10:11]
	s_and_b32 vcc_lo, exec_lo, s0
	v_add3_u32 v4, v7, v4, v2
	s_cbranch_vccnz .LBB0_8
; %bb.7:                                ;   in Loop: Header=BB0_2 Depth=1
	v_mov_b32_e32 v7, v9
	v_mov_b32_e32 v8, v10
	s_branch .LBB0_2
.LBB0_8:
	s_lshl_b64 s[0:1], s[10:11], 3
	v_mul_hi_u32 v2, 0xaaaaaaab, v1
	s_add_u32 s0, s12, s0
	s_addc_u32 s1, s13, s1
	s_load_dwordx2 s[4:5], s[4:5], 0x20
	s_load_dwordx2 s[0:1], s[0:1], 0x0
	v_mul_hi_u32 v6, 0x3e0f83f, v0
	v_lshrrev_b32_e32 v2, 1, v2
	v_lshl_add_u32 v2, v2, 1, v2
	v_sub_nc_u32_e32 v1, v1, v2
	v_mul_u32_u24_e32 v2, 0x42, v6
	s_waitcnt lgkmcnt(0)
	v_cmp_gt_u64_e32 vcc_lo, s[4:5], v[9:10]
	v_mul_lo_u32 v7, s0, v10
	v_mul_lo_u32 v8, s1, v9
	v_mad_u64_u32 v[4:5], null, s0, v9, v[3:4]
	v_mul_u32_u24_e32 v3, 0x4a5, v1
	v_sub_nc_u32_e32 v0, v0, v2
	v_mov_b32_e32 v1, 0
	v_lshlrev_b32_e32 v38, 2, v3
	v_add3_u32 v5, v8, v5, v7
	v_mov_b32_e32 v8, v0
	v_lshlrev_b64 v[10:11], 2, v[4:5]
	s_and_saveexec_b32 s1, vcc_lo
	s_cbranch_execz .LBB0_12
; %bb.9:
	v_lshlrev_b64 v[6:7], 2, v[0:1]
	v_add_co_u32 v4, s0, s2, v10
	v_add_co_ci_u32_e64 v5, s0, s3, v11, s0
	v_lshlrev_b32_e32 v2, 2, v0
	v_add_co_u32 v6, s0, v4, v6
	v_add_co_ci_u32_e64 v7, s0, v5, v7, s0
	s_mov_b32 s4, exec_lo
	v_add_co_u32 v8, s0, 0x800, v6
	v_add_co_ci_u32_e64 v9, s0, 0, v7, s0
	s_clause 0x7
	global_load_dword v12, v[6:7], off
	global_load_dword v13, v[6:7], off offset:264
	global_load_dword v14, v[6:7], off offset:528
	;; [unrolled: 1-line block ×7, first 2 shown]
	v_add_co_u32 v6, s0, 0x1000, v6
	v_add_co_ci_u32_e64 v7, s0, 0, v7, s0
	s_clause 0x9
	global_load_dword v20, v[8:9], off offset:64
	global_load_dword v21, v[8:9], off offset:328
	;; [unrolled: 1-line block ×10, first 2 shown]
	v_add3_u32 v6, 0, v38, v2
	v_mov_b32_e32 v2, v1
	v_mov_b32_e32 v1, v0
	v_add_nc_u32_e32 v27, 0x400, v6
	v_add_nc_u32_e32 v28, 0x800, v6
	;; [unrolled: 1-line block ×4, first 2 shown]
	s_waitcnt vmcnt(16)
	ds_write2_b32 v6, v12, v13 offset1:66
	s_waitcnt vmcnt(14)
	ds_write2_b32 v6, v14, v15 offset0:132 offset1:198
	s_waitcnt vmcnt(12)
	ds_write2_b32 v27, v16, v17 offset0:8 offset1:74
	;; [unrolled: 2-line block ×8, first 2 shown]
	v_cmpx_eq_u32_e32 0x41, v0
	s_cbranch_execz .LBB0_11
; %bb.10:
	v_add_co_u32 v0, s0, 0x1000, v4
	v_add_co_ci_u32_e64 v1, s0, 0, v5, s0
	global_load_dword v4, v[0:1], off offset:656
	v_mov_b32_e32 v1, 0x41
	v_mov_b32_e32 v2, 0
	;; [unrolled: 1-line block ×3, first 2 shown]
	s_waitcnt vmcnt(0)
	ds_write_b32 v6, v4 offset:4492
.LBB0_11:
	s_or_b32 exec_lo, exec_lo, s4
	v_mov_b32_e32 v8, v0
	v_mov_b32_e32 v0, v1
	v_mov_b32_e32 v1, v2
.LBB0_12:
	s_or_b32 exec_lo, exec_lo, s1
	v_lshl_add_u32 v36, v3, 2, 0
	v_lshlrev_b32_e32 v2, 2, v8
	s_waitcnt lgkmcnt(0)
	s_barrier
	buffer_gl0_inv
	v_lshlrev_b64 v[12:13], 2, v[0:1]
	v_add_nc_u32_e32 v37, v36, v2
	v_sub_nc_u32_e32 v2, v36, v2
	s_add_u32 s1, s8, 0x1278
	s_addc_u32 s4, s9, 0
	ds_read_u16 v3, v37
	ds_read_u16 v4, v2 offset:4752
	s_mov_b32 s5, exec_lo
	s_waitcnt lgkmcnt(0)
	v_add_f16_e32 v0, v4, v3
	v_sub_f16_e32 v1, v3, v4
	v_cmpx_ne_u32_e32 0, v8
	s_xor_b32 s5, exec_lo, s5
	s_cbranch_execz .LBB0_14
; %bb.13:
	v_add_co_u32 v0, s0, s1, v12
	v_add_co_ci_u32_e64 v1, s0, s4, v13, s0
	v_add_f16_e32 v6, v4, v3
	v_sub_f16_e32 v3, v3, v4
	global_load_dword v5, v[0:1], off
	ds_read_u16 v0, v2 offset:4754
	ds_read_u16 v1, v37 offset:2
	s_waitcnt lgkmcnt(0)
	v_add_f16_e32 v4, v0, v1
	v_sub_f16_e32 v0, v1, v0
	s_waitcnt vmcnt(0)
	v_lshrrev_b32_e32 v7, 16, v5
	v_fma_f16 v9, -v3, v7, v6
	v_fma_f16 v14, v4, v7, -v0
	v_fma_f16 v6, v3, v7, v6
	v_fma_f16 v1, v4, v7, v0
	v_fmac_f16_e32 v9, v5, v4
	v_fmac_f16_e32 v14, v3, v5
	v_fma_f16 v0, -v5, v4, v6
	v_fmac_f16_e32 v1, v3, v5
	v_pack_b32_f16 v4, v9, v14
	ds_write_b32 v2, v4 offset:4752
.LBB0_14:
	s_andn2_saveexec_b32 s0, s5
	s_cbranch_execz .LBB0_16
; %bb.15:
	ds_read_b32 v3, v36 offset:2376
	s_waitcnt lgkmcnt(0)
	v_pk_mul_f16 v3, 0xc0004000, v3
	ds_write_b32 v36, v3 offset:2376
.LBB0_16:
	s_or_b32 exec_lo, exec_lo, s0
	v_mov_b32_e32 v9, 0
	v_perm_b32 v0, v1, v0, 0x5040100
	v_mov_b32_e32 v30, 0x3800
	v_mov_b32_e32 v31, 0xbaee
	v_lshlrev_b64 v[3:4], 2, v[8:9]
	v_add_co_u32 v3, s0, s1, v3
	v_add_co_ci_u32_e64 v4, s0, s4, v4, s0
	s_clause 0x6
	global_load_dword v5, v[3:4], off offset:264
	global_load_dword v6, v[3:4], off offset:528
	;; [unrolled: 1-line block ×7, first 2 shown]
	ds_write_b32 v37, v0
	v_add_co_u32 v0, s0, 0x800, v3
	v_add_co_ci_u32_e64 v1, s0, 0, v4, s0
	ds_read_b32 v17, v37 offset:264
	ds_read_b32 v18, v2 offset:4488
	v_cmp_gt_u32_e64 s0, 42, v8
	global_load_dword v0, v[0:1], off offset:64
	s_waitcnt lgkmcnt(0)
	v_add_f16_e32 v1, v17, v18
	v_add_f16_sdwa v3, v18, v17 dst_sel:DWORD dst_unused:UNUSED_PAD src0_sel:WORD_1 src1_sel:WORD_1
	v_sub_f16_e32 v4, v17, v18
	v_sub_f16_sdwa v17, v17, v18 dst_sel:DWORD dst_unused:UNUSED_PAD src0_sel:WORD_1 src1_sel:WORD_1
	s_waitcnt vmcnt(7)
	v_lshrrev_b32_e32 v19, 16, v5
	v_fma_f16 v18, v4, v19, v1
	v_fma_f16 v20, v3, v19, v17
	v_fma_f16 v1, -v4, v19, v1
	v_fma_f16 v17, v3, v19, -v17
	v_fma_f16 v18, -v5, v3, v18
	v_fmac_f16_e32 v20, v4, v5
	v_fmac_f16_e32 v1, v5, v3
	;; [unrolled: 1-line block ×3, first 2 shown]
	s_waitcnt vmcnt(6)
	v_lshrrev_b32_e32 v4, 16, v6
	v_pack_b32_f16 v3, v18, v20
	v_pack_b32_f16 v1, v1, v17
	ds_write_b32 v37, v3 offset:264
	ds_write_b32 v2, v1 offset:4488
	ds_read_b32 v1, v37 offset:528
	ds_read_b32 v3, v2 offset:4224
	s_waitcnt lgkmcnt(0)
	v_add_f16_e32 v5, v1, v3
	v_add_f16_sdwa v17, v3, v1 dst_sel:DWORD dst_unused:UNUSED_PAD src0_sel:WORD_1 src1_sel:WORD_1
	v_sub_f16_e32 v18, v1, v3
	v_sub_f16_sdwa v1, v1, v3 dst_sel:DWORD dst_unused:UNUSED_PAD src0_sel:WORD_1 src1_sel:WORD_1
	v_fma_f16 v3, v18, v4, v5
	v_fma_f16 v19, v17, v4, v1
	v_fma_f16 v5, -v18, v4, v5
	v_fma_f16 v1, v17, v4, -v1
	s_waitcnt vmcnt(5)
	v_lshrrev_b32_e32 v4, 16, v7
	v_fma_f16 v3, -v6, v17, v3
	v_fmac_f16_e32 v19, v18, v6
	v_fmac_f16_e32 v5, v6, v17
	v_fmac_f16_e32 v1, v18, v6
	v_pack_b32_f16 v3, v3, v19
	v_pack_b32_f16 v1, v5, v1
	ds_write_b32 v37, v3 offset:528
	ds_write_b32 v2, v1 offset:4224
	ds_read_b32 v1, v37 offset:792
	ds_read_b32 v3, v2 offset:3960
	s_waitcnt lgkmcnt(0)
	v_add_f16_e32 v5, v1, v3
	v_add_f16_sdwa v6, v3, v1 dst_sel:DWORD dst_unused:UNUSED_PAD src0_sel:WORD_1 src1_sel:WORD_1
	v_sub_f16_e32 v17, v1, v3
	v_sub_f16_sdwa v1, v1, v3 dst_sel:DWORD dst_unused:UNUSED_PAD src0_sel:WORD_1 src1_sel:WORD_1
	v_fma_f16 v3, v17, v4, v5
	v_fma_f16 v18, v6, v4, v1
	v_fma_f16 v5, -v17, v4, v5
	v_fma_f16 v1, v6, v4, -v1
	s_waitcnt vmcnt(4)
	v_lshrrev_b32_e32 v4, 16, v9
	v_fma_f16 v3, -v7, v6, v3
	v_fmac_f16_e32 v18, v17, v7
	v_fmac_f16_e32 v5, v7, v6
	v_fmac_f16_e32 v1, v17, v7
	;; [unrolled: 21-line block ×5, first 2 shown]
	v_pack_b32_f16 v3, v3, v9
	v_pack_b32_f16 v1, v5, v1
	ds_write_b32 v37, v3 offset:1584
	ds_write_b32 v2, v1 offset:3168
	ds_read_b32 v1, v37 offset:1848
	ds_read_b32 v3, v2 offset:2904
	s_waitcnt lgkmcnt(0)
	v_add_f16_e32 v5, v1, v3
	v_add_f16_sdwa v6, v3, v1 dst_sel:DWORD dst_unused:UNUSED_PAD src0_sel:WORD_1 src1_sel:WORD_1
	v_sub_f16_e32 v7, v1, v3
	v_sub_f16_sdwa v1, v1, v3 dst_sel:DWORD dst_unused:UNUSED_PAD src0_sel:WORD_1 src1_sel:WORD_1
	v_fma_f16 v3, v7, v4, v5
	v_fma_f16 v9, v6, v4, v1
	v_fma_f16 v5, -v7, v4, v5
	v_fma_f16 v1, v6, v4, -v1
	v_lshl_add_u32 v4, v8, 2, 0
	v_fma_f16 v3, -v16, v6, v3
	v_fmac_f16_e32 v9, v7, v16
	v_fmac_f16_e32 v5, v16, v6
	;; [unrolled: 1-line block ×3, first 2 shown]
	s_waitcnt vmcnt(0)
	v_lshrrev_b32_e32 v6, 16, v0
	v_pack_b32_f16 v3, v3, v9
	v_add_nc_u32_e32 v9, v4, v38
	v_pack_b32_f16 v1, v5, v1
	ds_write_b32 v37, v3 offset:1848
	ds_write_b32 v2, v1 offset:2904
	ds_read_b32 v1, v37 offset:2112
	ds_read_b32 v3, v2 offset:2640
	v_mul_u32_u24_e32 v5, 6, v8
	v_add_nc_u32_e32 v20, 0x200, v9
	v_add_nc_u32_e32 v27, 0x800, v9
	;; [unrolled: 1-line block ×3, first 2 shown]
	v_lshlrev_b32_e32 v4, 2, v5
	v_add3_u32 v26, 0, v4, v38
	v_add_nc_u32_e32 v33, 0x638, v26
	v_add_nc_u32_e32 v44, 0xc70, v26
	;; [unrolled: 1-line block ×4, first 2 shown]
	s_waitcnt lgkmcnt(0)
	v_add_f16_e32 v7, v1, v3
	v_add_f16_sdwa v14, v3, v1 dst_sel:DWORD dst_unused:UNUSED_PAD src0_sel:WORD_1 src1_sel:WORD_1
	v_sub_f16_e32 v15, v1, v3
	v_sub_f16_sdwa v1, v1, v3 dst_sel:DWORD dst_unused:UNUSED_PAD src0_sel:WORD_1 src1_sel:WORD_1
	v_add_nc_u32_e32 v43, 0xc68, v26
	v_add_nc_u32_e32 v34, 0x640, v26
	v_fma_f16 v3, v15, v6, v7
	v_fma_f16 v5, v14, v6, v1
	v_fma_f16 v7, -v15, v6, v7
	v_fma_f16 v6, v14, v6, -v1
	v_add_nc_u32_e32 v1, 0x400, v9
	v_fma_f16 v16, -v0, v14, v3
	v_fmac_f16_e32 v5, v15, v0
	v_fmac_f16_e32 v7, v0, v14
	;; [unrolled: 1-line block ×3, first 2 shown]
	v_add_nc_u32_e32 v3, 0x600, v9
	v_add_nc_u32_e32 v0, 0xa00, v9
	v_pack_b32_f16 v5, v16, v5
	v_pack_b32_f16 v6, v7, v6
	ds_write_b32 v37, v5 offset:2112
	ds_write_b32 v2, v6 offset:2640
	v_add_nc_u32_e32 v2, 0xe00, v9
	s_waitcnt lgkmcnt(0)
	s_barrier
	buffer_gl0_inv
	s_barrier
	buffer_gl0_inv
	ds_read2_b32 v[4:5], v9 offset0:66 offset1:132
	ds_read2_b32 v[6:7], v1 offset0:74 offset1:140
	;; [unrolled: 1-line block ×5, first 2 shown]
	ds_read_b32 v28, v9 offset:4488
	ds_read_b32 v29, v37
	ds_read2_b32 v[20:21], v20 offset0:70 offset1:136
	ds_read2_b32 v[22:23], v27 offset0:82 offset1:148
	;; [unrolled: 1-line block ×3, first 2 shown]
	s_waitcnt lgkmcnt(0)
	s_barrier
	buffer_gl0_inv
	v_pk_add_f16 v39, v5, v15
	v_pk_add_f16 v40, v6, v16
	;; [unrolled: 1-line block ×3, first 2 shown]
	v_pk_add_f16 v15, v15, v19 neg_lo:[0,1] neg_hi:[0,1]
	v_pk_add_f16 v42, v16, v28
	v_pk_add_f16 v48, v22, v24
	;; [unrolled: 1-line block ×4, first 2 shown]
	v_pk_add_f16 v7, v7, v17 neg_lo:[0,1] neg_hi:[0,1]
	v_pk_add_f16 v49, v4, v14
	v_pk_add_f16 v51, v14, v18
	v_pk_add_f16 v14, v14, v18 neg_lo:[0,1] neg_hi:[0,1]
	v_pk_add_f16 v52, v23, v25
	v_pk_add_f16 v16, v16, v28 neg_lo:[0,1] neg_hi:[0,1]
	;; [unrolled: 2-line block ×3, first 2 shown]
	v_pk_add_f16 v50, v21, v23
	v_pk_add_f16 v19, v39, v19
	;; [unrolled: 1-line block ×3, first 2 shown]
	v_pk_fma_f16 v5, v41, 0.5, v5 op_sel_hi:[1,0,1] neg_lo:[1,0,0] neg_hi:[1,0,0]
	v_pk_mul_f16 v39, 0x3aee, v15 op_sel_hi:[0,1]
	v_pk_fma_f16 v6, v42, 0.5, v6 op_sel_hi:[1,0,1] neg_lo:[1,0,0] neg_hi:[1,0,0]
	v_pk_fma_f16 v20, v48, 0.5, v20 op_sel_hi:[1,0,1] neg_lo:[1,0,0] neg_hi:[1,0,0]
	v_pk_add_f16 v23, v23, v25 neg_lo:[0,1] neg_hi:[0,1]
	v_pk_fma_f16 v29, v47, 0.5, v29 op_sel_hi:[1,0,1] neg_lo:[1,0,0] neg_hi:[1,0,0]
	v_pk_mul_f16 v7, 0x3aee, v7 op_sel_hi:[0,1]
	v_pk_fma_f16 v4, v51, 0.5, v4 op_sel_hi:[1,0,1] neg_lo:[1,0,0] neg_hi:[1,0,0]
	v_pk_mul_f16 v14, 0x3aee, v14 op_sel_hi:[0,1]
	v_pk_fma_f16 v21, v52, 0.5, v21 op_sel_hi:[1,0,1] neg_lo:[1,0,0] neg_hi:[1,0,0]
	v_pk_add_f16 v17, v45, v17
	v_pk_add_f16 v24, v46, v24
	;; [unrolled: 1-line block ×5, first 2 shown]
	v_pk_add_f16 v40, v5, v39 op_sel:[0,1] op_sel_hi:[1,0] neg_lo:[0,1] neg_hi:[0,1]
	v_pk_add_f16 v5, v5, v39 op_sel:[0,1] op_sel_hi:[1,0]
	v_pk_fma_f16 v39, 0x3aee, v16, v6 op_sel:[0,0,1] op_sel_hi:[0,1,0] neg_lo:[0,1,0] neg_hi:[0,1,0]
	v_pk_fma_f16 v6, 0x3aee, v16, v6 op_sel:[0,0,1] op_sel_hi:[0,1,0]
	v_pk_add_f16 v16, v19, v28 neg_lo:[0,1] neg_hi:[0,1]
	v_pk_fma_f16 v19, 0x3aee, v22, v20 op_sel:[0,0,1] op_sel_hi:[0,1,0]
	v_pk_fma_f16 v20, 0x3aee, v22, v20 op_sel:[0,0,1] op_sel_hi:[0,1,0] neg_lo:[0,1,0] neg_hi:[0,1,0]
	v_pk_add_f16 v45, v29, v7 op_sel:[0,1] op_sel_hi:[1,0]
	v_pk_add_f16 v7, v29, v7 op_sel:[0,1] op_sel_hi:[1,0] neg_lo:[0,1] neg_hi:[0,1]
	v_pk_add_f16 v29, v4, v14 op_sel:[0,1] op_sel_hi:[1,0]
	v_pk_add_f16 v4, v4, v14 op_sel:[0,1] op_sel_hi:[1,0] neg_lo:[0,1] neg_hi:[0,1]
	v_pk_fma_f16 v14, 0x3aee, v23, v21 op_sel:[0,0,1] op_sel_hi:[0,1,0]
	v_pk_fma_f16 v21, 0x3aee, v23, v21 op_sel:[0,0,1] op_sel_hi:[0,1,0] neg_lo:[0,1,0] neg_hi:[0,1,0]
	v_pk_add_f16 v28, v17, v24
	v_pk_add_f16 v22, v17, v24 neg_lo:[0,1] neg_hi:[0,1]
	v_pk_add_f16 v24, v18, v25
	v_pk_add_f16 v18, v18, v25 neg_lo:[0,1] neg_hi:[0,1]
	v_mul_f16_sdwa v17, v39, v30 dst_sel:DWORD dst_unused:UNUSED_PAD src0_sel:WORD_1 src1_sel:DWORD
	v_mul_f16_sdwa v23, v6, v31 dst_sel:DWORD dst_unused:UNUSED_PAD src0_sel:WORD_1 src1_sel:DWORD
	v_pk_mul_f16 v25, v6, 0.5 op_sel_hi:[1,0]
	v_lshrrev_b32_e32 v41, 16, v19
	v_bfi_b32 v42, 0xffff, v19, v20
	v_lshrrev_b32_e32 v19, 16, v14
	v_bfi_b32 v14, 0xffff, v14, v21
	v_mul_f16_e32 v48, 0x3aee, v21
	v_fma_f16 v6, v6, 0x3aee, -v17
	v_fmac_f16_e32 v23, 0.5, v39
	v_pk_fma_f16 v17, 0xbaee3aee, v39, v25 op_sel:[0,0,1] op_sel_hi:[1,1,0]
	v_pk_fma_f16 v25, 0xbaee3aee, v39, v25 op_sel:[0,0,1] op_sel_hi:[1,1,0] neg_lo:[0,0,1] neg_hi:[0,0,1]
	v_mul_f16_e32 v39, 0xbaee, v41
	v_pk_mul_f16 v49, v42, 0.5 op_sel_hi:[1,0]
	v_mul_f16_e32 v46, 0x3aee, v20
	v_mul_f16_e32 v50, 0xbaee, v19
	v_pk_mul_f16 v51, v14, 0.5 op_sel_hi:[1,0]
	v_bfi_b32 v30, 0xffff, v40, v5
	v_bfi_b32 v31, 0xffff, v7, v45
	v_fmac_f16_e32 v48, 0.5, v19
	v_add_f16_e32 v19, v40, v6
	v_bfi_b32 v52, 0xffff, v17, v25
	v_bfi_b32 v6, 0xffff, v6, v25
	v_fmac_f16_e32 v39, 0.5, v20
	v_pk_fma_f16 v25, 0xbaee3aee, v42, v49 op_sel:[0,0,1] op_sel_hi:[1,1,0] neg_lo:[0,0,1] neg_hi:[0,0,1]
	v_bfi_b32 v47, 0xffff, v4, v29
	v_fmac_f16_e32 v46, 0.5, v41
	v_fmac_f16_e32 v50, 0.5, v21
	v_pk_fma_f16 v14, 0xbaee3aee, v14, v51 op_sel:[0,0,1] op_sel_hi:[1,1,0] neg_lo:[0,0,1] neg_hi:[0,0,1]
	v_add_f16_sdwa v41, v40, v23 dst_sel:DWORD dst_unused:UNUSED_PAD src0_sel:WORD_1 src1_sel:DWORD
	v_sub_f16_e32 v17, v5, v17
	v_sub_f16_sdwa v40, v40, v23 dst_sel:DWORD dst_unused:UNUSED_PAD src0_sel:WORD_1 src1_sel:DWORD
	v_pk_add_f16 v20, v30, v6 neg_lo:[0,1] neg_hi:[0,1]
	v_pk_add_f16 v6, v31, v25
	v_sub_f16_sdwa v30, v45, v25 dst_sel:DWORD dst_unused:UNUSED_PAD src0_sel:WORD_1 src1_sel:WORD_1
	v_pack_b32_f16 v25, v39, v25
	v_add_f16_e32 v23, v45, v46
	v_sub_f16_e32 v46, v45, v46
	v_pk_add_f16 v42, v5, v52
	v_add_f16_sdwa v5, v7, v39 dst_sel:DWORD dst_unused:UNUSED_PAD src0_sel:WORD_1 src1_sel:DWORD
	v_pk_add_f16 v45, v47, v14
	v_sub_f16_sdwa v39, v29, v14 dst_sel:DWORD dst_unused:UNUSED_PAD src0_sel:WORD_1 src1_sel:WORD_1
	v_pack_b32_f16 v14, v50, v14
	v_add_f16_e32 v49, v29, v48
	v_add_f16_sdwa v31, v4, v50 dst_sel:DWORD dst_unused:UNUSED_PAD src0_sel:WORD_1 src1_sel:DWORD
	v_sub_f16_e32 v21, v29, v48
	v_pack_b32_f16 v29, v17, v40
	v_pk_add_f16 v7, v7, v25 op_sel:[1,0] op_sel_hi:[0,1] neg_lo:[0,1] neg_hi:[0,1]
	v_pack_b32_f16 v5, v23, v5
	v_pk_add_f16 v4, v4, v14 op_sel:[1,0] op_sel_hi:[0,1] neg_lo:[0,1] neg_hi:[0,1]
	ds_write2_b32 v26, v6, v22 offset0:2 offset1:3
	v_pack_b32_f16 v6, v49, v31
	v_pack_b32_f16 v14, v42, v41
	ds_write2_b32 v33, v45, v18 offset1:1
	v_bfi_b32 v18, 0xffff, v19, v42
	ds_write2_b32 v44, v29, v20 offset1:1
	ds_write2_b32 v26, v28, v5 offset1:1
	v_alignbit_b32 v5, v30, v7, 16
	v_pack_b32_f16 v7, v46, v7
	v_alignbit_b32 v22, v39, v4, 16
	v_pack_b32_f16 v21, v21, v4
	ds_write2_b32 v32, v24, v6 offset1:1
	ds_write2_b32 v35, v15, v14 offset1:1
	;; [unrolled: 1-line block ×3, first 2 shown]
	ds_write2_b32 v26, v7, v5 offset0:4 offset1:5
	ds_write2_b32 v34, v21, v22 offset1:1
	s_waitcnt lgkmcnt(0)
	s_barrier
	buffer_gl0_inv
	ds_read_b32 v49, v37
	ds_read2_b32 v[32:33], v9 offset0:108 offset1:216
	ds_read2_b32 v[30:31], v1 offset0:68 offset1:176
	;; [unrolled: 1-line block ×5, first 2 shown]
	v_lshrrev_b32_e32 v14, 16, v4
                                        ; implicit-def: $vgpr47
                                        ; implicit-def: $vgpr43
                                        ; implicit-def: $vgpr46
                                        ; implicit-def: $vgpr23
                                        ; implicit-def: $vgpr45
                                        ; implicit-def: $vgpr44
	s_and_saveexec_b32 s1, s0
	s_cbranch_execz .LBB0_18
; %bb.17:
	ds_read2_b32 v[14:15], v9 offset0:66 offset1:174
	ds_read2_b32 v[18:19], v1 offset0:26 offset1:134
	;; [unrolled: 1-line block ×5, first 2 shown]
	ds_read_b32 v43, v9 offset:4584
	s_waitcnt lgkmcnt(5)
	v_lshrrev_b32_e32 v39, 16, v14
	s_waitcnt lgkmcnt(4)
	v_lshrrev_b32_e32 v41, 16, v18
	;; [unrolled: 2-line block ×5, first 2 shown]
	v_lshrrev_b32_e32 v46, 16, v23
	s_waitcnt lgkmcnt(0)
	v_lshrrev_b32_e32 v47, 16, v43
	v_bfi_b32 v42, 0xffff, v18, v19
.LBB0_18:
	s_or_b32 exec_lo, exec_lo, s1
	v_and_b32_e32 v0, 0xff, v8
	v_mov_b32_e32 v50, 10
	s_waitcnt lgkmcnt(4)
	v_lshrrev_b32_e32 v53, 16, v32
	s_waitcnt lgkmcnt(0)
	v_lshrrev_b32_e32 v51, 16, v26
	v_lshrrev_b32_e32 v55, 16, v33
	v_mul_lo_u16 v0, 0xab, v0
	v_lshrrev_b32_e32 v56, 16, v30
	v_lshrrev_b32_e32 v57, 16, v31
	;; [unrolled: 1-line block ×4, first 2 shown]
	v_lshrrev_b16 v48, 10, v0
	v_lshrrev_b32_e32 v61, 16, v24
	v_lshrrev_b32_e32 v62, 16, v25
	;; [unrolled: 1-line block ×3, first 2 shown]
	v_mul_lo_u16 v0, v48, 6
	v_and_b32_e32 v48, 0xffff, v48
	v_sub_nc_u16 v54, v8, v0
	v_mad_u32_u24 v59, 0x108, v48, 0
	v_add_nc_u32_e32 v48, 0x42, v8
	v_mul_u32_u24_sdwa v0, v54, v50 dst_sel:DWORD dst_unused:UNUSED_PAD src0_sel:BYTE_0 src1_sel:DWORD
	v_lshlrev_b32_e32 v18, 2, v0
	s_clause 0x2
	global_load_dwordx4 v[0:3], v18, s[8:9]
	global_load_dwordx4 v[4:7], v18, s[8:9] offset:16
	global_load_dwordx2 v[34:35], v18, s[8:9] offset:32
	v_mov_b32_e32 v18, 2
	s_waitcnt vmcnt(0)
	s_barrier
	buffer_gl0_inv
	v_lshlrev_b32_sdwa v54, v18, v54 dst_sel:DWORD dst_unused:UNUSED_PAD src0_sel:DWORD src1_sel:BYTE_0
	v_add3_u32 v54, v59, v54, v38
	v_mul_f16_sdwa v59, v0, v53 dst_sel:DWORD dst_unused:UNUSED_PAD src0_sel:WORD_1 src1_sel:DWORD
	v_mul_f16_sdwa v63, v0, v32 dst_sel:DWORD dst_unused:UNUSED_PAD src0_sel:WORD_1 src1_sel:DWORD
	;; [unrolled: 1-line block ×16, first 2 shown]
	v_mul_f16_sdwa v78, v51, v34 dst_sel:DWORD dst_unused:UNUSED_PAD src0_sel:DWORD src1_sel:WORD_1
	v_fma_f16 v32, v0, v32, -v59
	v_fmac_f16_e32 v63, v0, v53
	v_mul_f16_sdwa v80, v52, v35 dst_sel:DWORD dst_unused:UNUSED_PAD src0_sel:DWORD src1_sel:WORD_1
	v_mul_f16_sdwa v81, v27, v35 dst_sel:DWORD dst_unused:UNUSED_PAD src0_sel:DWORD src1_sel:WORD_1
	;; [unrolled: 1-line block ×3, first 2 shown]
	v_fma_f16 v0, v1, v33, -v64
	v_fmac_f16_e32 v65, v1, v55
	v_fma_f16 v1, v2, v30, -v66
	v_fmac_f16_e32 v67, v2, v56
	;; [unrolled: 2-line block ×7, first 2 shown]
	v_fma_f16 v7, v26, v34, -v78
	v_add_f16_e32 v25, v32, v49
	v_add_f16_sdwa v26, v63, v49 dst_sel:DWORD dst_unused:UNUSED_PAD src0_sel:DWORD src1_sel:WORD_1
	v_fma_f16 v24, v27, v35, -v80
	v_fmac_f16_e32 v81, v52, v35
	v_add_f16_e32 v31, v0, v7
	v_sub_f16_e32 v33, v0, v7
	v_add_f16_e32 v0, v25, v0
	v_add_f16_e32 v25, v26, v65
	v_fmac_f16_e32 v79, v51, v34
	v_sub_f16_e32 v29, v32, v24
	v_sub_f16_e32 v30, v63, v81
	v_add_f16_e32 v51, v1, v6
	v_sub_f16_e32 v52, v1, v6
	v_add_f16_e32 v0, v0, v1
	v_add_f16_e32 v1, v25, v67
	;; [unrolled: 1-line block ×5, first 2 shown]
	v_sub_f16_e32 v34, v65, v79
	v_sub_f16_e32 v35, v67, v77
	;; [unrolled: 1-line block ×6, first 2 shown]
	v_mul_f16_e32 v26, 0xb853, v30
	v_mul_f16_e32 v63, 0xb853, v29
	;; [unrolled: 1-line block ×10, first 2 shown]
	v_add_f16_e32 v0, v0, v2
	v_add_f16_e32 v1, v1, v69
	;; [unrolled: 1-line block ×7, first 2 shown]
	v_mul_f16_e32 v74, 0xbb47, v34
	v_mul_f16_e32 v76, 0xbb47, v33
	v_mul_f16_e32 v78, 0xba0c, v34
	v_mul_f16_e32 v80, 0xba0c, v33
	v_mul_f16_e32 v82, 0x3482, v34
	v_mul_f16_e32 v83, 0x3beb, v34
	v_mul_f16_e32 v34, 0x3853, v34
	v_mul_f16_e32 v84, 0x3482, v33
	v_mul_f16_e32 v85, 0x3beb, v33
	v_mul_f16_e32 v33, 0x3853, v33
	v_mul_f16_e32 v86, 0xbbeb, v35
	v_mul_f16_e32 v87, 0x3482, v35
	v_mul_f16_e32 v88, 0x3b47, v35
	v_mul_f16_e32 v89, 0xb853, v35
	v_mul_f16_e32 v35, 0xba0c, v35
	v_mul_f16_e32 v90, 0xbbeb, v52
	v_mul_f16_e32 v91, 0x3482, v52
	v_mul_f16_e32 v92, 0x3b47, v52
	v_mul_f16_e32 v93, 0xb853, v52
	v_mul_f16_e32 v52, 0xba0c, v52
	v_mul_f16_e32 v94, 0xba0c, v55
	v_mul_f16_e32 v95, 0x3beb, v55
	v_mul_f16_e32 v96, 0xb853, v55
	v_mul_f16_e32 v97, 0xb482, v55
	v_mul_f16_e32 v55, 0x3b47, v55
	v_mul_f16_e32 v98, 0xba0c, v57
	v_mul_f16_e32 v99, 0x3beb, v57
	v_mul_f16_e32 v100, 0xb853, v57
	v_mul_f16_e32 v101, 0xb482, v57
	v_mul_f16_e32 v57, 0x3b47, v57
	v_mul_f16_e32 v102, 0xb482, v59
	v_mul_f16_e32 v103, 0x3853, v59
	v_mul_f16_e32 v104, 0xba0c, v59
	v_mul_f16_e32 v105, 0x3b47, v59
	v_mul_f16_e32 v59, 0xbbeb, v59
	v_mul_f16_e32 v106, 0xb482, v61
	v_mul_f16_e32 v107, 0x3853, v61
	v_mul_f16_e32 v108, 0xba0c, v61
	v_mul_f16_e32 v109, 0x3b47, v61
	v_mul_f16_e32 v61, 0xbbeb, v61
	v_fma_f16 v110, v27, 0x3abb, -v26
	v_fmamk_f16 v111, v28, 0x3abb, v63
	v_fmac_f16_e32 v26, 0x3abb, v27
	v_fma_f16 v63, v28, 0x3abb, -v63
	v_fma_f16 v112, v27, 0x36a6, -v64
	v_fmamk_f16 v113, v28, 0x36a6, v65
	v_fmac_f16_e32 v64, 0x36a6, v27
	v_fma_f16 v65, v28, 0x36a6, -v65
	;; [unrolled: 4-line block ×5, first 2 shown]
	v_add_f16_e32 v0, v0, v3
	v_add_f16_e32 v1, v1, v71
	v_fma_f16 v28, v31, 0x36a6, -v74
	v_fmac_f16_e32 v74, 0x36a6, v31
	v_fma_f16 v29, v31, 0xb93d, -v78
	v_fmac_f16_e32 v78, 0xb93d, v31
	v_fma_f16 v120, v31, 0xbbad, -v82
	v_fmac_f16_e32 v82, 0xbbad, v31
	v_fma_f16 v121, v31, 0xb08e, -v83
	v_fmac_f16_e32 v83, 0xb08e, v31
	v_fma_f16 v122, v31, 0x3abb, -v34
	v_fmac_f16_e32 v34, 0x3abb, v31
	v_fmamk_f16 v31, v32, 0x36a6, v76
	v_fma_f16 v76, v32, 0x36a6, -v76
	v_fmamk_f16 v123, v32, 0xb93d, v80
	v_fma_f16 v80, v32, 0xb93d, -v80
	v_fmamk_f16 v124, v32, 0xbbad, v84
	v_fma_f16 v84, v32, 0xbbad, -v84
	v_fmamk_f16 v125, v32, 0xb08e, v85
	v_fma_f16 v85, v32, 0xb08e, -v85
	v_fmamk_f16 v126, v32, 0x3abb, v33
	v_fma_f16 v32, v32, 0x3abb, -v33
	v_fma_f16 v33, v51, 0xb08e, -v86
	v_fmac_f16_e32 v86, 0xb08e, v51
	v_fma_f16 v127, v51, 0xbbad, -v87
	v_fmac_f16_e32 v87, 0xbbad, v51
	v_fma_f16 v128, v51, 0x36a6, -v88
	v_fmac_f16_e32 v88, 0x36a6, v51
	v_fma_f16 v129, v51, 0x3abb, -v89
	v_fmac_f16_e32 v89, 0x3abb, v51
	v_fma_f16 v130, v51, 0xb93d, -v35
	v_fmac_f16_e32 v35, 0xb93d, v51
	v_fmamk_f16 v25, v53, 0xb08e, v90
	v_fma_f16 v51, v53, 0xb08e, -v90
	v_fmamk_f16 v67, v53, 0xbbad, v91
	v_fma_f16 v90, v53, 0xbbad, -v91
	v_fmamk_f16 v91, v53, 0x36a6, v92
	v_fma_f16 v92, v53, 0x36a6, -v92
	v_fmamk_f16 v131, v53, 0x3abb, v93
	v_fma_f16 v93, v53, 0x3abb, -v93
	v_fmamk_f16 v132, v53, 0xb93d, v52
	v_fma_f16 v52, v53, 0xb93d, -v52
	;; [unrolled: 20-line block ×4, first 2 shown]
	v_add_f16_e32 v2, v110, v49
	v_add_f16_sdwa v62, v111, v49 dst_sel:DWORD dst_unused:UNUSED_PAD src0_sel:DWORD src1_sel:WORD_1
	v_add_f16_e32 v26, v26, v49
	v_add_f16_sdwa v63, v63, v49 dst_sel:DWORD dst_unused:UNUSED_PAD src0_sel:DWORD src1_sel:WORD_1
	;; [unrolled: 2-line block ×10, first 2 shown]
	v_add_f16_e32 v0, v0, v4
	v_add_f16_e32 v1, v1, v73
	;; [unrolled: 1-line block ×90, first 2 shown]
	v_pack_b32_f16 v2, v2, v3
	v_pack_b32_f16 v3, v6, v25
	;; [unrolled: 1-line block ×11, first 2 shown]
	ds_write2_b32 v54, v3, v6 offset0:12 offset1:18
	ds_write2_b32 v54, v7, v25 offset0:24 offset1:30
	;; [unrolled: 1-line block ×4, first 2 shown]
	ds_write2_b32 v54, v0, v2 offset1:6
	ds_write_b32 v54, v4 offset:240
	s_and_saveexec_b32 s1, s0
	s_cbranch_execz .LBB0_20
; %bb.19:
	v_and_b32_e32 v0, 0xff, v48
	v_lshrrev_b32_e32 v28, 16, v15
	v_lshrrev_b32_e32 v30, 16, v16
	;; [unrolled: 1-line block ×4, first 2 shown]
	v_mul_lo_u16 v0, 0xab, v0
	v_lshrrev_b16 v26, 10, v0
	v_mul_lo_u16 v0, v26, 6
	v_and_b32_e32 v26, 0xffff, v26
	v_sub_nc_u16 v27, v48, v0
	v_mad_u32_u24 v26, 0x108, v26, 0
	v_mul_u32_u24_sdwa v0, v27, v50 dst_sel:DWORD dst_unused:UNUSED_PAD src0_sel:BYTE_0 src1_sel:DWORD
	v_lshlrev_b32_sdwa v27, v18, v27 dst_sel:DWORD dst_unused:UNUSED_PAD src0_sel:DWORD src1_sel:BYTE_0
	v_lshlrev_b32_e32 v4, 2, v0
	v_add3_u32 v26, v26, v27, v38
	s_clause 0x2
	global_load_dwordx2 v[24:25], v4, s[8:9] offset:32
	global_load_dwordx4 v[0:3], v4, s[8:9]
	global_load_dwordx4 v[4:7], v4, s[8:9] offset:16
	s_waitcnt vmcnt(2)
	v_mul_f16_sdwa v27, v43, v25 dst_sel:DWORD dst_unused:UNUSED_PAD src0_sel:DWORD src1_sel:WORD_1
	s_waitcnt vmcnt(1)
	v_mul_f16_sdwa v32, v15, v0 dst_sel:DWORD dst_unused:UNUSED_PAD src0_sel:DWORD src1_sel:WORD_1
	v_mul_f16_sdwa v33, v28, v0 dst_sel:DWORD dst_unused:UNUSED_PAD src0_sel:DWORD src1_sel:WORD_1
	;; [unrolled: 1-line block ×8, first 2 shown]
	s_waitcnt vmcnt(0)
	v_mul_f16_sdwa v60, v20, v5 dst_sel:DWORD dst_unused:UNUSED_PAD src0_sel:DWORD src1_sel:WORD_1
	v_mul_f16_sdwa v61, v17, v4 dst_sel:DWORD dst_unused:UNUSED_PAD src0_sel:DWORD src1_sel:WORD_1
	;; [unrolled: 1-line block ×3, first 2 shown]
	v_fmac_f16_e32 v27, v47, v25
	v_fmac_f16_e32 v32, v28, v0
	v_fma_f16 v0, v15, v0, -v33
	v_fma_f16 v15, v43, v25, -v34
	v_mul_f16_sdwa v35, v23, v24 dst_sel:DWORD dst_unused:UNUSED_PAD src0_sel:DWORD src1_sel:WORD_1
	v_mul_f16_sdwa v52, v22, v7 dst_sel:DWORD dst_unused:UNUSED_PAD src0_sel:DWORD src1_sel:WORD_1
	;; [unrolled: 1-line block ×8, first 2 shown]
	v_fmac_f16_e32 v49, v41, v1
	v_fma_f16 v1, v42, v1, -v50
	v_fma_f16 v23, v23, v24, -v51
	v_fmac_f16_e32 v57, v30, v3
	v_fma_f16 v3, v16, v3, -v58
	v_fmac_f16_e32 v60, v31, v5
	v_fmac_f16_e32 v61, v40, v4
	v_fma_f16 v4, v17, v4, -v62
	v_add_f16_e32 v16, v32, v27
	v_sub_f16_e32 v17, v0, v15
	v_add_f16_e32 v30, v0, v15
	v_sub_f16_e32 v31, v32, v27
	v_add_f16_e32 v0, v14, v0
	v_add_f16_e32 v32, v39, v32
	v_fmac_f16_e32 v35, v46, v24
	v_fmac_f16_e32 v52, v45, v7
	;; [unrolled: 1-line block ×3, first 2 shown]
	v_fma_f16 v2, v19, v2, -v54
	v_fma_f16 v7, v22, v7, -v55
	v_fmac_f16_e32 v56, v44, v6
	v_fma_f16 v6, v21, v6, -v59
	v_fma_f16 v5, v20, v5, -v63
	v_sub_f16_e32 v20, v1, v23
	v_add_f16_e32 v33, v1, v23
	v_add_f16_e32 v0, v0, v1
	;; [unrolled: 1-line block ×5, first 2 shown]
	v_sub_f16_e32 v22, v2, v7
	v_add_f16_e32 v24, v57, v56
	v_sub_f16_e32 v25, v3, v6
	v_add_f16_e32 v28, v61, v60
	v_sub_f16_e32 v29, v4, v5
	v_sub_f16_e32 v34, v49, v35
	;; [unrolled: 1-line block ×5, first 2 shown]
	v_add_f16_e32 v0, v0, v2
	v_add_f16_e32 v1, v1, v53
	v_mul_f16_e32 v46, 0xbbad, v16
	v_mul_f16_e32 v55, 0xb482, v31
	;; [unrolled: 1-line block ×8, first 2 shown]
	v_add_f16_e32 v40, v2, v7
	v_add_f16_e32 v42, v3, v6
	;; [unrolled: 1-line block ×3, first 2 shown]
	v_mul_f16_e32 v47, 0x3abb, v19
	v_mul_f16_e32 v50, 0xb93d, v21
	;; [unrolled: 1-line block ×16, first 2 shown]
	v_add_f16_e32 v0, v0, v3
	v_add_f16_e32 v1, v1, v57
	v_mul_f16_e32 v70, 0x3beb, v34
	v_mul_f16_e32 v71, 0xb853, v41
	;; [unrolled: 1-line block ×20, first 2 shown]
	v_fmamk_f16 v32, v17, 0x3482, v46
	v_fmamk_f16 v102, v30, 0xbbad, v55
	v_fmac_f16_e32 v46, 0xb482, v17
	v_fma_f16 v17, v30, 0xbbad, -v55
	v_fmamk_f16 v55, v16, 0xb93d, v64
	v_fma_f16 v107, v30, 0xb93d, -v69
	v_fmamk_f16 v112, v16, 0xb08e, v74
	;; [unrolled: 2-line block ×3, first 2 shown]
	v_fma_f16 v127, v30, 0x36a6, -v89
	v_fma_f16 v2, v16, 0xb93d, -v64
	v_fmac_f16_e32 v69, 0xb93d, v30
	v_mul_f16_e32 v86, 0x3482, v22
	v_mul_f16_e32 v88, 0x3853, v29
	;; [unrolled: 1-line block ×6, first 2 shown]
	v_fmamk_f16 v49, v20, 0xb853, v47
	v_fmamk_f16 v99, v22, 0x3a0c, v50
	;; [unrolled: 1-line block ×8, first 2 shown]
	v_fmac_f16_e32 v47, 0x3853, v20
	v_fmac_f16_e32 v50, 0xba0c, v22
	;; [unrolled: 1-line block ×4, first 2 shown]
	v_fma_f16 v20, v33, 0x3abb, -v58
	v_fma_f16 v22, v40, 0xb93d, -v59
	;; [unrolled: 1-line block ×4, first 2 shown]
	v_fmamk_f16 v58, v19, 0xb08e, v65
	v_fmamk_f16 v59, v21, 0x3abb, v66
	;; [unrolled: 1-line block ×7, first 2 shown]
	v_fma_f16 v53, v19, 0xb08e, -v65
	v_fma_f16 v64, v21, 0x3abb, -v66
	;; [unrolled: 1-line block ×7, first 2 shown]
	v_fmac_f16_e32 v79, 0xb08e, v30
	v_fma_f16 v77, v16, 0x36a6, -v84
	v_fmac_f16_e32 v89, 0x36a6, v30
	v_fma_f16 v137, v30, 0x3abb, -v31
	v_add_f16_e32 v0, v0, v4
	v_add_f16_e32 v1, v1, v61
	v_fma_f16 v108, v33, 0xb08e, -v70
	v_fma_f16 v109, v40, 0x3abb, -v71
	v_fma_f16 v110, v42, 0xbbad, -v72
	v_fma_f16 v111, v44, 0x36a6, -v73
	v_fmamk_f16 v114, v21, 0x36a6, v76
	v_fmamk_f16 v116, v28, 0xb93d, v78
	v_fma_f16 v118, v33, 0xbbad, -v80
	v_fma_f16 v119, v40, 0x36a6, -v81
	;; [unrolled: 1-line block ×4, first 2 shown]
	v_fmamk_f16 v123, v19, 0xb93d, v85
	v_fmamk_f16 v125, v24, 0xb08e, v87
	v_fma_f16 v128, v33, 0xb93d, -v90
	v_fma_f16 v129, v40, 0xbbad, -v91
	;; [unrolled: 1-line block ×8, first 2 shown]
	v_fmac_f16_e32 v70, 0xb08e, v33
	v_fmac_f16_e32 v71, 0x3abb, v40
	;; [unrolled: 1-line block ×4, first 2 shown]
	v_fma_f16 v74, v21, 0x36a6, -v76
	v_fma_f16 v76, v28, 0xb93d, -v78
	v_fmac_f16_e32 v80, 0xbbad, v33
	v_fmac_f16_e32 v81, 0x36a6, v40
	;; [unrolled: 1-line block ×4, first 2 shown]
	v_fma_f16 v78, v19, 0xb93d, -v85
	v_fma_f16 v85, v24, 0xb08e, -v87
	v_fmac_f16_e32 v90, 0xb93d, v33
	v_fmac_f16_e32 v91, 0xbbad, v40
	v_fmac_f16_e32 v92, 0xb08e, v42
	v_fmac_f16_e32 v93, 0x3abb, v44
	v_fma_f16 v16, v16, 0x3abb, -v94
	v_fmac_f16_e32 v31, 0x3abb, v30
	v_fmac_f16_e32 v34, 0x36a6, v33
	;; [unrolled: 1-line block ×5, first 2 shown]
	v_add_f16_e32 v30, v39, v32
	v_add_f16_e32 v32, v14, v102
	;; [unrolled: 1-line block ×12, first 2 shown]
	v_fmamk_f16 v124, v21, 0xbbad, v86
	v_fmamk_f16 v126, v28, 0x3abb, v88
	;; [unrolled: 1-line block ×3, first 2 shown]
	v_fma_f16 v84, v21, 0xbbad, -v86
	v_fma_f16 v86, v28, 0x3abb, -v88
	v_add_f16_e32 v88, v39, v132
	v_add_f16_e32 v57, v39, v67
	;; [unrolled: 1-line block ×8, first 2 shown]
	v_fma_f16 v19, v19, 0x36a6, -v95
	v_add_f16_e32 v16, v39, v16
	v_add_f16_e32 v14, v14, v31
	v_add_f16_e32 v30, v49, v30
	v_add_f16_e32 v31, v103, v32
	v_add_f16_e32 v32, v47, v33
	v_add_f16_e32 v17, v20, v17
	v_add_f16_e32 v20, v58, v40
	v_add_f16_e32 v33, v108, v42
	v_add_f16_e32 v39, v113, v44
	v_add_f16_e32 v40, v118, v46
	v_add_f16_e32 v42, v123, v55
	v_add_f16_e32 v44, v128, v87
	v_add_f16_e32 v2, v53, v2
	v_add_f16_e32 v3, v70, v3
	v_fmamk_f16 v134, v21, 0xb08e, v96
	v_add_f16_e32 v46, v133, v88
	v_add_f16_e32 v4, v68, v57
	;; [unrolled: 1-line block ×8, first 2 shown]
	v_fma_f16 v21, v21, 0xb08e, -v96
	v_add_f16_e32 v16, v19, v16
	v_add_f16_e32 v14, v34, v14
	;; [unrolled: 1-line block ×14, first 2 shown]
	v_fmamk_f16 v135, v24, 0xb93d, v97
	v_add_f16_e32 v40, v134, v46
	v_add_f16_e32 v4, v74, v4
	v_add_f16_e32 v5, v81, v49
	v_add_f16_e32 v44, v84, v53
	v_add_f16_e32 v46, v91, v55
	v_add_f16_e32 v42, v139, v47
	v_add_f16_e32 v0, v0, v7
	v_add_f16_e32 v1, v1, v52
	v_fma_f16 v24, v24, 0xb93d, -v97
	v_add_f16_e32 v16, v21, v16
	v_add_f16_e32 v14, v41, v14
	;; [unrolled: 1-line block ×19, first 2 shown]
	v_fmamk_f16 v136, v28, 0xbbad, v98
	v_add_f16_e32 v39, v140, v42
	v_add_f16_e32 v0, v0, v23
	;; [unrolled: 1-line block ×3, first 2 shown]
	v_fma_f16 v28, v28, 0xbbad, -v98
	v_add_f16_e32 v16, v24, v16
	v_add_f16_e32 v14, v43, v14
	v_add_f16_e32 v24, v54, v30
	v_add_f16_e32 v17, v29, v17
	v_add_f16_e32 v25, v116, v25
	v_add_f16_e32 v29, v121, v31
	v_add_f16_e32 v30, v126, v32
	v_add_f16_e32 v31, v131, v33
	v_add_f16_e32 v20, v63, v20
	v_add_f16_e32 v22, v111, v22
	v_add_f16_e32 v19, v101, v19
	v_add_f16_e32 v21, v106, v21
	v_add_f16_e32 v2, v66, v2
	v_add_f16_e32 v3, v73, v3
	v_add_f16_e32 v4, v76, v4
	v_add_f16_e32 v5, v83, v5
	v_add_f16_e32 v6, v86, v6
	v_add_f16_e32 v7, v93, v40
	v_add_f16_e32 v32, v136, v34
	v_add_f16_e32 v33, v141, v39
	v_add_f16_e32 v0, v0, v15
	v_add_f16_e32 v1, v1, v27
	v_add_f16_e32 v16, v28, v16
	v_add_f16_e32 v14, v45, v14
	v_pack_b32_f16 v28, v31, v30
	v_pack_b32_f16 v25, v29, v25
	;; [unrolled: 1-line block ×11, first 2 shown]
	ds_write2_b32 v26, v28, v25 offset0:12 offset1:18
	ds_write2_b32 v26, v20, v17 offset0:24 offset1:30
	;; [unrolled: 1-line block ×4, first 2 shown]
	ds_write2_b32 v26, v0, v23 offset1:6
	ds_write_b32 v26, v5 offset:240
.LBB0_20:
	s_or_b32 exec_lo, exec_lo, s1
	v_add_nc_u32_e32 v19, 0xc6, v8
	v_mov_b32_e32 v2, 0xf83f
	v_add_nc_u32_e32 v21, 0x84, v8
	v_add_nc_u32_e32 v20, 0x108, v8
	;; [unrolled: 1-line block ×4, first 2 shown]
	v_mul_u32_u24_sdwa v1, v19, v2 dst_sel:DWORD dst_unused:UNUSED_PAD src0_sel:WORD_0 src1_sel:DWORD
	v_and_b32_e32 v0, 0xff, v21
	v_add_nc_u32_e32 v4, 0x1ce, v8
	v_add_nc_u32_e32 v5, 0x210, v8
	v_mul_u32_u24_sdwa v43, v20, v2 dst_sel:DWORD dst_unused:UNUSED_PAD src0_sel:WORD_0 src1_sel:DWORD
	v_lshrrev_b32_e32 v1, 22, v1
	v_mul_lo_u16 v0, 0xf9, v0
	v_mul_u32_u24_sdwa v45, v17, v2 dst_sel:DWORD dst_unused:UNUSED_PAD src0_sel:WORD_0 src1_sel:DWORD
	s_waitcnt lgkmcnt(0)
	s_barrier
	v_mul_lo_u16 v1, 0x42, v1
	v_lshrrev_b16 v0, 14, v0
	v_lshrrev_b32_e32 v14, 22, v45
	buffer_gl0_inv
	v_add_nc_u32_e32 v15, 0x200, v9
	v_sub_nc_u16 v7, v19, v1
	v_mul_lo_u16 v6, 0x42, v0
	v_add_co_u32 v0, s0, s8, v12
	v_mul_u32_u24_sdwa v12, v4, v2 dst_sel:DWORD dst_unused:UNUSED_PAD src0_sel:WORD_0 src1_sel:DWORD
	v_lshlrev_b32_sdwa v44, v18, v7 dst_sel:DWORD dst_unused:UNUSED_PAD src0_sel:DWORD src1_sel:WORD_0
	v_mul_u32_u24_sdwa v7, v3, v2 dst_sel:DWORD dst_unused:UNUSED_PAD src0_sel:WORD_0 src1_sel:DWORD
	v_mul_u32_u24_sdwa v2, v5, v2 dst_sel:DWORD dst_unused:UNUSED_PAD src0_sel:WORD_0 src1_sel:DWORD
	v_add_co_ci_u32_e64 v1, s0, s9, v13, s0
	v_lshrrev_b32_e32 v13, 22, v43
	v_lshrrev_b32_e32 v7, 22, v7
	;; [unrolled: 1-line block ×4, first 2 shown]
	v_mul_lo_u16 v14, 0x42, v14
	v_mul_lo_u16 v13, 0x42, v13
	;; [unrolled: 1-line block ×5, first 2 shown]
	v_sub_nc_u16 v6, v21, v6
	v_sub_nc_u16 v13, v20, v13
	;; [unrolled: 1-line block ×6, first 2 shown]
	v_lshlrev_b32_sdwa v46, v18, v13 dst_sel:DWORD dst_unused:UNUSED_PAD src0_sel:DWORD src1_sel:WORD_0
	v_lshlrev_b32_sdwa v47, v18, v14 dst_sel:DWORD dst_unused:UNUSED_PAD src0_sel:DWORD src1_sel:WORD_0
	v_lshlrev_b32_sdwa v59, v18, v6 dst_sel:DWORD dst_unused:UNUSED_PAD src0_sel:DWORD src1_sel:BYTE_0
	v_lshlrev_b32_sdwa v49, v18, v3 dst_sel:DWORD dst_unused:UNUSED_PAD src0_sel:DWORD src1_sel:WORD_0
	v_lshlrev_b32_sdwa v50, v18, v4 dst_sel:DWORD dst_unused:UNUSED_PAD src0_sel:DWORD src1_sel:WORD_0
	;; [unrolled: 1-line block ×3, first 2 shown]
	s_clause 0x7
	global_load_dword v52, v44, s[8:9] offset:240
	global_load_dword v53, v46, s[8:9] offset:240
	;; [unrolled: 1-line block ×6, first 2 shown]
	global_load_dword v58, v[0:1], off offset:240
	global_load_dword v60, v59, s[8:9] offset:240
	v_add_nc_u32_e32 v6, 0x800, v9
	v_add_nc_u32_e32 v7, 0x600, v9
	;; [unrolled: 1-line block ×6, first 2 shown]
	ds_read2_b32 v[22:23], v9 offset0:66 offset1:132
	ds_read_b32 v61, v37
	ds_read_b32 v62, v9 offset:4488
	ds_read2_b32 v[24:25], v6 offset0:82 offset1:148
	ds_read2_b32 v[26:27], v15 offset0:70 offset1:136
	;; [unrolled: 1-line block ×7, first 2 shown]
	v_lshlrev_b32_e32 v0, 1, v8
	v_mov_b32_e32 v1, 0
	s_waitcnt vmcnt(0) lgkmcnt(0)
	s_barrier
	buffer_gl0_inv
	v_lshlrev_b64 v[2:3], 2, v[0:1]
	v_lshlrev_b32_e32 v0, 1, v48
	v_add3_u32 v48, 0, v59, v38
	v_lshlrev_b64 v[41:42], 2, v[0:1]
	v_add_co_u32 v4, s0, s8, v2
	v_add_co_ci_u32_e64 v5, s0, s9, v3, s0
	v_lshrrev_b32_e32 v0, 23, v43
	v_add_co_u32 v2, s0, s8, v41
	v_lshrrev_b32_e32 v43, 23, v45
	v_add3_u32 v45, 0, v49, v38
	v_add_co_ci_u32_e64 v3, s0, s9, v42, s0
	v_add3_u32 v42, 0, v46, v38
	v_add3_u32 v46, 0, v50, v38
	;; [unrolled: 1-line block ×5, first 2 shown]
	v_add_nc_u32_e32 v48, 0x400, v48
	v_add_nc_u32_e32 v42, 0x800, v42
	;; [unrolled: 1-line block ×3, first 2 shown]
	v_mul_lo_u16 v0, 0x84, v0
	v_add_nc_u32_e32 v44, 0x800, v44
	v_add_nc_u32_e32 v45, 0xc00, v45
	v_add_nc_u32_e32 v46, 0xc00, v46
	v_add_nc_u32_e32 v47, 0x1000, v47
	v_pk_mul_f16 v66, v40, v52 op_sel:[0,1]
	v_pk_mul_f16 v65, v34, v53 op_sel:[0,1]
	;; [unrolled: 1-line block ×9, first 2 shown]
	v_pk_fma_f16 v68, v58, v24, v49 op_sel:[0,0,1] op_sel_hi:[1,1,0] neg_lo:[0,0,1] neg_hi:[0,0,1]
	v_pk_fma_f16 v24, v58, v24, v49 op_sel:[0,0,1] op_sel_hi:[1,0,0]
	v_pk_fma_f16 v49, v58, v25, v50 op_sel:[0,0,1] op_sel_hi:[1,1,0] neg_lo:[0,0,1] neg_hi:[0,0,1]
	v_pk_fma_f16 v25, v58, v25, v50 op_sel:[0,0,1] op_sel_hi:[1,0,0]
	;; [unrolled: 2-line block ×9, first 2 shown]
	v_bfi_b32 v24, 0xffff, v68, v24
	v_bfi_b32 v25, 0xffff, v49, v25
	;; [unrolled: 1-line block ×9, first 2 shown]
	v_pk_add_f16 v24, v61, v24 neg_lo:[0,1] neg_hi:[0,1]
	v_pk_add_f16 v25, v22, v25 neg_lo:[0,1] neg_hi:[0,1]
	;; [unrolled: 1-line block ×9, first 2 shown]
	v_pk_fma_f16 v50, v61, 2.0, v24 op_sel_hi:[1,0,1] neg_lo:[0,0,1] neg_hi:[0,0,1]
	v_pk_fma_f16 v22, v22, 2.0, v25 op_sel_hi:[1,0,1] neg_lo:[0,0,1] neg_hi:[0,0,1]
	;; [unrolled: 1-line block ×9, first 2 shown]
	ds_write2_b32 v9, v50, v24 offset1:66
	ds_write2_b32 v9, v22, v25 offset0:132 offset1:198
	ds_write2_b32 v48, v23, v39 offset0:8 offset1:74
	;; [unrolled: 1-line block ×8, first 2 shown]
	v_mul_lo_u16 v27, 0x84, v43
	v_mov_b32_e32 v26, 3
	v_sub_nc_u16 v34, v20, v0
	s_waitcnt lgkmcnt(0)
	s_barrier
	v_sub_nc_u16 v35, v17, v27
	buffer_gl0_inv
	v_lshlrev_b32_sdwa v0, v26, v34 dst_sel:DWORD dst_unused:UNUSED_PAD src0_sel:DWORD src1_sel:WORD_0
	s_clause 0x1
	global_load_dwordx2 v[22:23], v[4:5], off offset:504
	global_load_dwordx2 v[24:25], v[2:3], off offset:504
	v_lshlrev_b32_sdwa v28, v26, v35 dst_sel:DWORD dst_unused:UNUSED_PAD src0_sel:DWORD src1_sel:WORD_0
	s_clause 0x1
	global_load_dwordx2 v[26:27], v0, s[8:9] offset:504
	global_load_dwordx2 v[28:29], v28, s[8:9] offset:504
	v_lshlrev_b32_e32 v0, 1, v21
	v_lshlrev_b32_sdwa v21, v18, v34 dst_sel:DWORD dst_unused:UNUSED_PAD src0_sel:DWORD src1_sel:WORD_0
	v_lshlrev_b32_sdwa v18, v18, v35 dst_sel:DWORD dst_unused:UNUSED_PAD src0_sel:DWORD src1_sel:WORD_0
	v_lshlrev_b64 v[30:31], 2, v[0:1]
	v_lshlrev_b32_e32 v0, 1, v19
	v_add3_u32 v21, 0, v21, v38
	v_add3_u32 v18, 0, v18, v38
	v_add_co_u32 v19, s0, s8, v30
	v_lshlrev_b64 v[32:33], 2, v[0:1]
	v_lshlrev_b32_e32 v0, 1, v20
	v_add_co_ci_u32_e64 v20, s0, s9, v31, s0
	ds_read_b32 v53, v37
	ds_read2_b32 v[30:31], v9 offset0:66 offset1:132
	ds_read2_b32 v[34:35], v7 offset0:78 offset1:144
	;; [unrolled: 1-line block ×8, first 2 shown]
	v_lshlrev_b64 v[47:48], 2, v[0:1]
	v_lshlrev_b32_e32 v0, 1, v17
	ds_read_b32 v17, v9 offset:4488
	s_waitcnt vmcnt(0) lgkmcnt(0)
	s_barrier
	buffer_gl0_inv
	v_add_nc_u32_e32 v38, 0xc00, v21
	v_add_nc_u32_e32 v54, 0xc00, v18
	v_lshrrev_b32_e32 v58, 16, v35
	v_lshrrev_b32_e32 v59, 16, v40
	;; [unrolled: 1-line block ×18, first 2 shown]
	v_mul_f16_sdwa v73, v22, v68 dst_sel:DWORD dst_unused:UNUSED_PAD src0_sel:WORD_1 src1_sel:DWORD
	v_mul_f16_sdwa v74, v22, v50 dst_sel:DWORD dst_unused:UNUSED_PAD src0_sel:WORD_1 src1_sel:DWORD
	;; [unrolled: 1-line block ×8, first 2 shown]
	v_mul_f16_sdwa v81, v58, v22 dst_sel:DWORD dst_unused:UNUSED_PAD src0_sel:DWORD src1_sel:WORD_1
	v_mul_f16_sdwa v82, v35, v22 dst_sel:DWORD dst_unused:UNUSED_PAD src0_sel:DWORD src1_sel:WORD_1
	;; [unrolled: 1-line block ×16, first 2 shown]
	v_fma_f16 v50, v22, v50, -v73
	v_fmac_f16_e32 v74, v22, v68
	v_fma_f16 v52, v23, v52, -v75
	v_fmac_f16_e32 v76, v23, v70
	;; [unrolled: 2-line block ×6, first 2 shown]
	v_fmac_f16_e32 v96, v69, v29
	v_fmac_f16_e32 v84, v59, v23
	v_fma_f16 v23, v43, v24, -v85
	v_fmac_f16_e32 v86, v61, v24
	v_fma_f16 v24, v45, v25, -v87
	;; [unrolled: 2-line block ×5, first 2 shown]
	v_fma_f16 v17, v17, v29, -v95
	v_add_f16_e32 v29, v50, v52
	v_add_f16_e32 v44, v74, v76
	;; [unrolled: 1-line block ×4, first 2 shown]
	v_sub_f16_e32 v45, v50, v52
	v_add_f16_e32 v46, v30, v34
	v_add_f16_e32 v50, v34, v39
	;; [unrolled: 1-line block ×9, first 2 shown]
	v_sub_f16_e32 v40, v74, v76
	v_sub_f16_e32 v51, v78, v80
	v_add_f16_e32 v74, v25, v26
	v_add_f16_e32 v78, v90, v92
	v_add_f16_e32 v81, v27, v17
	v_fmac_f16_e32 v53, -0.5, v29
	v_fmac_f16_e32 v55, -0.5, v44
	v_sub_f16_e32 v34, v34, v39
	v_add_f16_e32 v61, v31, v35
	v_sub_f16_e32 v64, v82, v84
	v_add_f16_e32 v79, v49, v27
	v_add_f16_e32 v83, v66, v94
	v_sub_f16_e32 v27, v27, v17
	v_add_f16_e32 v28, v28, v52
	v_add_f16_e32 v29, v43, v76
	v_add_f16_e32 v39, v46, v39
	v_fma_f16 v30, -0.5, v50, v30
	v_add_f16_e32 v43, v58, v80
	v_fmac_f16_e32 v56, -0.5, v59
	v_fmac_f16_e32 v31, -0.5, v62
	;; [unrolled: 1-line block ×3, first 2 shown]
	v_add_f16_e32 v65, v57, v82
	v_sub_f16_e32 v35, v35, v22
	v_fmac_f16_e32 v57, -0.5, v67
	v_add_f16_e32 v68, v41, v23
	v_sub_f16_e32 v70, v86, v88
	v_add_f16_e32 v71, v60, v86
	v_sub_f16_e32 v23, v23, v24
	v_fma_f16 v41, -0.5, v69, v41
	v_fmac_f16_e32 v60, -0.5, v72
	v_add_f16_e32 v73, v42, v25
	v_sub_f16_e32 v75, v90, v92
	v_add_f16_e32 v77, v63, v90
	v_sub_f16_e32 v25, v25, v26
	v_sub_f16_e32 v82, v94, v96
	v_fmac_f16_e32 v42, -0.5, v74
	v_fmac_f16_e32 v63, -0.5, v78
	;; [unrolled: 1-line block ×3, first 2 shown]
	v_fmamk_f16 v58, v40, 0x3aee, v53
	v_fmac_f16_e32 v53, 0xbaee, v40
	v_fmamk_f16 v40, v45, 0xbaee, v55
	v_fmac_f16_e32 v55, 0x3aee, v45
	;; [unrolled: 2-line block ×6, first 2 shown]
	v_pack_b32_f16 v27, v28, v29
	v_pack_b32_f16 v28, v39, v43
	v_add_f16_e32 v22, v61, v22
	v_add_f16_e32 v44, v65, v84
	v_fmamk_f16 v59, v35, 0xbaee, v57
	v_fmac_f16_e32 v57, 0x3aee, v35
	v_add_f16_e32 v24, v68, v24
	v_add_f16_e32 v46, v71, v88
	;; [unrolled: 1-line block ×4, first 2 shown]
	v_fmamk_f16 v35, v70, 0x3aee, v41
	v_fmamk_f16 v61, v23, 0xbaee, v60
	v_add_f16_e32 v26, v73, v26
	v_add_f16_e32 v50, v77, v92
	v_fmac_f16_e32 v41, 0xbaee, v70
	v_fmac_f16_e32 v60, 0x3aee, v23
	v_fmamk_f16 v23, v75, 0x3aee, v42
	v_fmac_f16_e32 v42, 0xbaee, v75
	v_fmamk_f16 v62, v25, 0xbaee, v63
	;; [unrolled: 2-line block ×3, first 2 shown]
	v_fmac_f16_e32 v49, 0xbaee, v82
	v_pack_b32_f16 v29, v58, v40
	v_pack_b32_f16 v39, v53, v55
	ds_write2_b32 v9, v27, v28 offset1:66
	v_pack_b32_f16 v27, v45, v51
	v_pack_b32_f16 v28, v30, v56
	;; [unrolled: 1-line block ×14, first 2 shown]
	ds_write2_b32 v15, v29, v39 offset0:4 offset1:136
	ds_write2_b32 v15, v27, v28 offset0:70 offset1:202
	;; [unrolled: 1-line block ×3, first 2 shown]
	ds_write_b32 v9, v31 offset:2640
	ds_write2_b32 v7, v24, v34 offset0:78 offset1:210
	ds_write_b32 v9, v35 offset:2904
	ds_write2_b32 v38, v26, v23 offset0:24 offset1:156
	;; [unrolled: 2-line block ×3, first 2 shown]
	ds_write_b32 v18, v41 offset:4224
	v_add_co_u32 v17, s0, s8, v32
	v_lshlrev_b64 v[21:22], 2, v[0:1]
	v_add_co_ci_u32_e64 v18, s0, s9, v33, s0
	v_add_co_u32 v23, s0, s8, v47
	v_add_co_ci_u32_e64 v24, s0, s9, v48, s0
	v_add_co_u32 v21, s0, s8, v21
	v_add_co_ci_u32_e64 v22, s0, s9, v22, s0
	s_waitcnt lgkmcnt(0)
	s_barrier
	buffer_gl0_inv
	s_clause 0x5
	global_load_dwordx2 v[4:5], v[4:5], off offset:1560
	global_load_dwordx2 v[17:18], v[17:18], off offset:1560
	;; [unrolled: 1-line block ×6, first 2 shown]
	ds_read_b32 v0, v37
	ds_read2_b32 v[25:26], v9 offset0:66 offset1:132
	ds_read2_b32 v[27:28], v7 offset0:78 offset1:144
	ds_read2_b32 v[29:30], v13 offset0:90 offset1:156
	ds_read2_b32 v[31:32], v15 offset0:70 offset1:136
	ds_read2_b32 v[33:34], v6 offset0:82 offset1:148
	ds_read2_b32 v[15:16], v16 offset0:94 offset1:160
	ds_read2_b32 v[37:38], v12 offset0:74 offset1:140
	ds_read2_b32 v[39:40], v14 offset0:86 offset1:152
	ds_read_b32 v35, v9 offset:4488
	s_waitcnt vmcnt(0) lgkmcnt(0)
	s_barrier
	buffer_gl0_inv
	v_add_nc_u32_e32 v41, 0x1000, v9
	v_lshrrev_b32_e32 v42, 16, v0
	v_lshrrev_b32_e32 v43, 16, v25
	;; [unrolled: 1-line block ×18, first 2 shown]
	v_mul_f16_sdwa v60, v4, v55 dst_sel:DWORD dst_unused:UNUSED_PAD src0_sel:WORD_1 src1_sel:DWORD
	v_mul_f16_sdwa v61, v4, v38 dst_sel:DWORD dst_unused:UNUSED_PAD src0_sel:WORD_1 src1_sel:DWORD
	;; [unrolled: 1-line block ×8, first 2 shown]
	v_mul_f16_sdwa v68, v45, v19 dst_sel:DWORD dst_unused:UNUSED_PAD src0_sel:DWORD src1_sel:WORD_1
	v_mul_f16_sdwa v69, v28, v19 dst_sel:DWORD dst_unused:UNUSED_PAD src0_sel:DWORD src1_sel:WORD_1
	;; [unrolled: 1-line block ×16, first 2 shown]
	v_fma_f16 v38, v4, v38, -v60
	v_fmac_f16_e32 v61, v4, v55
	v_fma_f16 v4, v5, v40, -v62
	v_fmac_f16_e32 v63, v5, v57
	;; [unrolled: 2-line block ×8, first 2 shown]
	v_fmac_f16_e32 v81, v54, v21
	v_fmac_f16_e32 v83, v56, v22
	v_fma_f16 v17, v34, v23, -v76
	v_fmac_f16_e32 v77, v51, v23
	v_fma_f16 v16, v16, v24, -v78
	;; [unrolled: 2-line block ×3, first 2 shown]
	v_fma_f16 v21, v35, v22, -v82
	v_add_f16_e32 v23, v38, v4
	v_add_f16_e32 v28, v61, v63
	;; [unrolled: 1-line block ×4, first 2 shown]
	v_sub_f16_e32 v29, v38, v4
	v_add_f16_e32 v30, v25, v5
	v_add_f16_e32 v33, v5, v2
	v_add_f16_e32 v35, v43, v65
	v_add_f16_e32 v38, v65, v67
	v_add_f16_e32 v40, v3, v19
	v_add_f16_e32 v48, v69, v71
	v_add_f16_e32 v39, v26, v3
	v_add_f16_e32 v46, v44, v69
	v_add_f16_e32 v49, v31, v20
	v_add_f16_e32 v51, v20, v15
	v_add_f16_e32 v54, v47, v73
	v_add_f16_e32 v55, v73, v75
	v_add_f16_e32 v66, v81, v83
	v_add_f16_e32 v57, v17, v16
	v_add_f16_e32 v60, v77, v79
	v_sub_f16_e32 v24, v61, v63
	v_sub_f16_e32 v34, v65, v67
	v_add_f16_e32 v56, v32, v17
	v_add_f16_e32 v59, v50, v77
	;; [unrolled: 1-line block ×5, first 2 shown]
	v_fmac_f16_e32 v0, -0.5, v23
	v_fmac_f16_e32 v42, -0.5, v28
	v_sub_f16_e32 v5, v5, v2
	v_sub_f16_e32 v45, v69, v71
	;; [unrolled: 1-line block ×3, first 2 shown]
	v_add_f16_e32 v4, v22, v4
	v_add_f16_e32 v22, v27, v63
	;; [unrolled: 1-line block ×3, first 2 shown]
	v_fma_f16 v23, -0.5, v33, v25
	v_add_f16_e32 v25, v35, v67
	v_fmac_f16_e32 v43, -0.5, v38
	v_fmac_f16_e32 v26, -0.5, v40
	;; [unrolled: 1-line block ×3, first 2 shown]
	v_sub_f16_e32 v52, v73, v75
	v_sub_f16_e32 v20, v20, v15
	;; [unrolled: 1-line block ×3, first 2 shown]
	v_add_f16_e32 v19, v39, v19
	v_add_f16_e32 v27, v46, v71
	v_add_f16_e32 v15, v49, v15
	v_fma_f16 v28, -0.5, v51, v31
	v_add_f16_e32 v30, v54, v75
	v_fmac_f16_e32 v47, -0.5, v55
	v_fmac_f16_e32 v53, -0.5, v66
	v_sub_f16_e32 v58, v77, v79
	v_sub_f16_e32 v17, v17, v16
	v_fmac_f16_e32 v32, -0.5, v57
	v_fmac_f16_e32 v50, -0.5, v60
	v_sub_f16_e32 v64, v81, v83
	v_add_f16_e32 v16, v56, v16
	v_add_f16_e32 v31, v59, v79
	;; [unrolled: 1-line block ×3, first 2 shown]
	v_fmac_f16_e32 v37, -0.5, v62
	v_add_f16_e32 v33, v65, v83
	v_fmamk_f16 v35, v24, 0x3aee, v0
	v_fmac_f16_e32 v0, 0xbaee, v24
	v_fmamk_f16 v24, v29, 0xbaee, v42
	v_fmac_f16_e32 v42, 0x3aee, v29
	;; [unrolled: 2-line block ×4, first 2 shown]
	v_fmamk_f16 v5, v45, 0x3aee, v26
	v_fmamk_f16 v38, v3, 0xbaee, v44
	v_pack_b32_f16 v4, v4, v22
	v_pack_b32_f16 v2, v2, v25
	v_fmac_f16_e32 v26, 0xbaee, v45
	v_fmac_f16_e32 v44, 0x3aee, v3
	v_fmamk_f16 v3, v52, 0x3aee, v28
	v_fmac_f16_e32 v28, 0xbaee, v52
	v_fmamk_f16 v39, v20, 0xbaee, v47
	;; [unrolled: 2-line block ×3, first 2 shown]
	v_fmac_f16_e32 v53, 0x3aee, v18
	v_pack_b32_f16 v18, v19, v27
	v_pack_b32_f16 v15, v15, v30
	v_fmamk_f16 v20, v58, 0x3aee, v32
	v_fmamk_f16 v40, v17, 0xbaee, v50
	v_fmac_f16_e32 v32, 0xbaee, v58
	v_fmac_f16_e32 v50, 0x3aee, v17
	v_fmamk_f16 v17, v64, 0x3aee, v37
	v_fmac_f16_e32 v37, 0xbaee, v64
	v_pack_b32_f16 v16, v16, v31
	v_pack_b32_f16 v19, v21, v33
	;; [unrolled: 1-line block ×4, first 2 shown]
	ds_write2_b32 v9, v4, v2 offset1:66
	v_pack_b32_f16 v2, v29, v34
	v_pack_b32_f16 v5, v5, v38
	;; [unrolled: 1-line block ×3, first 2 shown]
	ds_write2_b32 v9, v18, v15 offset0:132 offset1:198
	v_pack_b32_f16 v15, v28, v47
	v_pack_b32_f16 v3, v3, v39
	;; [unrolled: 1-line block ×5, first 2 shown]
	ds_write2_b32 v12, v16, v19 offset0:8 offset1:74
	v_pack_b32_f16 v12, v17, v45
	v_pack_b32_f16 v16, v37, v53
	ds_write_b32 v9, v21 offset:1584
	ds_write_b32 v9, v0 offset:3168
	ds_write2_b32 v7, v2, v5 offset0:78 offset1:144
	ds_write2_b32 v13, v22, v15 offset0:156 offset1:222
	;; [unrolled: 1-line block ×5, first 2 shown]
	s_waitcnt lgkmcnt(0)
	s_barrier
	buffer_gl0_inv
	s_and_saveexec_b32 s0, vcc_lo
	s_cbranch_execz .LBB0_22
; %bb.21:
	v_lshl_add_u32 v19, v8, 2, v36
	v_mov_b32_e32 v9, v1
	v_add_nc_u32_e32 v0, 0x42, v8
	v_add_co_u32 v20, vcc_lo, s2, v10
	ds_read2_b32 v[2:3], v19 offset1:66
	v_lshlrev_b64 v[6:7], 2, v[8:9]
	v_add_co_ci_u32_e32 v21, vcc_lo, s3, v11, vcc_lo
	v_lshlrev_b64 v[4:5], 2, v[0:1]
	v_add_nc_u32_e32 v0, 0x84, v8
	v_add_nc_u32_e32 v22, 0x400, v19
	v_add_co_u32 v6, vcc_lo, v20, v6
	v_add_co_ci_u32_e32 v7, vcc_lo, v21, v7, vcc_lo
	v_lshlrev_b64 v[11:12], 2, v[0:1]
	v_add_nc_u32_e32 v0, 0xc6, v8
	ds_read2_b32 v[9:10], v19 offset0:132 offset1:198
	v_add_co_u32 v4, vcc_lo, v20, v4
	v_add_co_ci_u32_e32 v5, vcc_lo, v21, v5, vcc_lo
	v_lshlrev_b64 v[13:14], 2, v[0:1]
	v_add_nc_u32_e32 v0, 0x108, v8
	s_waitcnt lgkmcnt(1)
	global_store_dword v[6:7], v2, off
	ds_read2_b32 v[6:7], v22 offset0:8 offset1:74
	v_add_co_u32 v11, vcc_lo, v20, v11
	v_lshlrev_b64 v[15:16], 2, v[0:1]
	v_add_co_ci_u32_e32 v12, vcc_lo, v21, v12, vcc_lo
	v_add_nc_u32_e32 v0, 0x14a, v8
	v_add_co_u32 v13, vcc_lo, v20, v13
	v_add_co_ci_u32_e32 v14, vcc_lo, v21, v14, vcc_lo
	v_add_co_u32 v15, vcc_lo, v20, v15
	v_lshlrev_b64 v[17:18], 2, v[0:1]
	v_add_nc_u32_e32 v0, 0x18c, v8
	v_add_co_ci_u32_e32 v16, vcc_lo, v21, v16, vcc_lo
	global_store_dword v[4:5], v3, off
	s_waitcnt lgkmcnt(1)
	global_store_dword v[11:12], v9, off
	global_store_dword v[13:14], v10, off
	s_waitcnt lgkmcnt(0)
	global_store_dword v[15:16], v6, off
	v_add_nc_u32_e32 v6, 0x800, v19
	v_lshlrev_b64 v[2:3], 2, v[0:1]
	v_add_nc_u32_e32 v0, 0x1ce, v8
	ds_read2_b32 v[9:10], v22 offset0:140 offset1:206
	v_add_co_u32 v4, vcc_lo, v20, v17
	ds_read2_b32 v[13:14], v6 offset0:16 offset1:82
	v_lshlrev_b64 v[11:12], 2, v[0:1]
	v_add_nc_u32_e32 v0, 0x210, v8
	v_add_co_ci_u32_e32 v5, vcc_lo, v21, v18, vcc_lo
	v_add_co_u32 v2, vcc_lo, v20, v2
	v_lshlrev_b64 v[15:16], 2, v[0:1]
	v_add_co_ci_u32_e32 v3, vcc_lo, v21, v3, vcc_lo
	v_add_nc_u32_e32 v0, 0x252, v8
	v_add_co_u32 v11, vcc_lo, v20, v11
	v_add_co_ci_u32_e32 v12, vcc_lo, v21, v12, vcc_lo
	v_add_co_u32 v15, vcc_lo, v20, v15
	v_lshlrev_b64 v[17:18], 2, v[0:1]
	v_add_nc_u32_e32 v0, 0x294, v8
	v_add_co_ci_u32_e32 v16, vcc_lo, v21, v16, vcc_lo
	global_store_dword v[4:5], v7, off
	s_waitcnt lgkmcnt(1)
	global_store_dword v[2:3], v9, off
	global_store_dword v[11:12], v10, off
	s_waitcnt lgkmcnt(0)
	global_store_dword v[15:16], v13, off
	v_add_nc_u32_e32 v13, 0xc00, v19
	v_lshlrev_b64 v[2:3], 2, v[0:1]
	v_add_nc_u32_e32 v0, 0x2d6, v8
	ds_read2_b32 v[6:7], v6 offset0:148 offset1:214
	v_add_co_u32 v4, vcc_lo, v20, v17
	ds_read2_b32 v[11:12], v13 offset0:24 offset1:90
	v_lshlrev_b64 v[9:10], 2, v[0:1]
	v_add_nc_u32_e32 v0, 0x318, v8
	v_add_co_ci_u32_e32 v5, vcc_lo, v21, v18, vcc_lo
	v_add_co_u32 v2, vcc_lo, v20, v2
	v_lshlrev_b64 v[15:16], 2, v[0:1]
	v_add_nc_u32_e32 v0, 0x35a, v8
	v_add_co_ci_u32_e32 v3, vcc_lo, v21, v3, vcc_lo
	v_add_co_u32 v9, vcc_lo, v20, v9
	v_add_co_ci_u32_e32 v10, vcc_lo, v21, v10, vcc_lo
	v_lshlrev_b64 v[17:18], 2, v[0:1]
	v_add_nc_u32_e32 v0, 0x39c, v8
	v_add_co_u32 v15, vcc_lo, v20, v15
	v_add_co_ci_u32_e32 v16, vcc_lo, v21, v16, vcc_lo
	global_store_dword v[4:5], v14, off
	s_waitcnt lgkmcnt(1)
	global_store_dword v[2:3], v6, off
	global_store_dword v[9:10], v7, off
	s_waitcnt lgkmcnt(0)
	global_store_dword v[15:16], v11, off
	v_lshlrev_b64 v[2:3], 2, v[0:1]
	v_add_nc_u32_e32 v0, 0x3de, v8
	v_add_nc_u32_e32 v11, 0x1000, v19
	ds_read2_b32 v[6:7], v13 offset0:156 offset1:222
	v_add_co_u32 v4, vcc_lo, v20, v17
	v_lshlrev_b64 v[9:10], 2, v[0:1]
	v_add_nc_u32_e32 v0, 0x420, v8
	ds_read2_b32 v[13:14], v11 offset0:32 offset1:98
	v_add_co_ci_u32_e32 v5, vcc_lo, v21, v18, vcc_lo
	v_add_co_u32 v2, vcc_lo, v20, v2
	v_lshlrev_b64 v[15:16], 2, v[0:1]
	v_add_nc_u32_e32 v0, 0x462, v8
	v_add_co_ci_u32_e32 v3, vcc_lo, v21, v3, vcc_lo
	v_add_co_u32 v8, vcc_lo, v20, v9
	v_lshlrev_b64 v[0:1], 2, v[0:1]
	v_add_co_ci_u32_e32 v9, vcc_lo, v21, v10, vcc_lo
	v_add_co_u32 v10, vcc_lo, v20, v15
	v_add_co_ci_u32_e32 v11, vcc_lo, v21, v16, vcc_lo
	v_add_co_u32 v0, vcc_lo, v20, v0
	v_add_co_ci_u32_e32 v1, vcc_lo, v21, v1, vcc_lo
	global_store_dword v[4:5], v12, off
	s_waitcnt lgkmcnt(1)
	global_store_dword v[2:3], v6, off
	global_store_dword v[8:9], v7, off
	s_waitcnt lgkmcnt(0)
	global_store_dword v[10:11], v13, off
	global_store_dword v[0:1], v14, off
.LBB0_22:
	s_endpgm
	.section	.rodata,"a",@progbits
	.p2align	6, 0x0
	.amdhsa_kernel fft_rtc_fwd_len1188_factors_6_11_2_3_3_wgs_198_tpt_66_halfLds_half_ip_CI_unitstride_sbrr_C2R_dirReg
		.amdhsa_group_segment_fixed_size 0
		.amdhsa_private_segment_fixed_size 0
		.amdhsa_kernarg_size 88
		.amdhsa_user_sgpr_count 6
		.amdhsa_user_sgpr_private_segment_buffer 1
		.amdhsa_user_sgpr_dispatch_ptr 0
		.amdhsa_user_sgpr_queue_ptr 0
		.amdhsa_user_sgpr_kernarg_segment_ptr 1
		.amdhsa_user_sgpr_dispatch_id 0
		.amdhsa_user_sgpr_flat_scratch_init 0
		.amdhsa_user_sgpr_private_segment_size 0
		.amdhsa_wavefront_size32 1
		.amdhsa_uses_dynamic_stack 0
		.amdhsa_system_sgpr_private_segment_wavefront_offset 0
		.amdhsa_system_sgpr_workgroup_id_x 1
		.amdhsa_system_sgpr_workgroup_id_y 0
		.amdhsa_system_sgpr_workgroup_id_z 0
		.amdhsa_system_sgpr_workgroup_info 0
		.amdhsa_system_vgpr_workitem_id 0
		.amdhsa_next_free_vgpr 149
		.amdhsa_next_free_sgpr 21
		.amdhsa_reserve_vcc 1
		.amdhsa_reserve_flat_scratch 0
		.amdhsa_float_round_mode_32 0
		.amdhsa_float_round_mode_16_64 0
		.amdhsa_float_denorm_mode_32 3
		.amdhsa_float_denorm_mode_16_64 3
		.amdhsa_dx10_clamp 1
		.amdhsa_ieee_mode 1
		.amdhsa_fp16_overflow 0
		.amdhsa_workgroup_processor_mode 1
		.amdhsa_memory_ordered 1
		.amdhsa_forward_progress 0
		.amdhsa_shared_vgpr_count 0
		.amdhsa_exception_fp_ieee_invalid_op 0
		.amdhsa_exception_fp_denorm_src 0
		.amdhsa_exception_fp_ieee_div_zero 0
		.amdhsa_exception_fp_ieee_overflow 0
		.amdhsa_exception_fp_ieee_underflow 0
		.amdhsa_exception_fp_ieee_inexact 0
		.amdhsa_exception_int_div_zero 0
	.end_amdhsa_kernel
	.text
.Lfunc_end0:
	.size	fft_rtc_fwd_len1188_factors_6_11_2_3_3_wgs_198_tpt_66_halfLds_half_ip_CI_unitstride_sbrr_C2R_dirReg, .Lfunc_end0-fft_rtc_fwd_len1188_factors_6_11_2_3_3_wgs_198_tpt_66_halfLds_half_ip_CI_unitstride_sbrr_C2R_dirReg
                                        ; -- End function
	.section	.AMDGPU.csdata,"",@progbits
; Kernel info:
; codeLenInByte = 14640
; NumSgprs: 23
; NumVgprs: 149
; ScratchSize: 0
; MemoryBound: 0
; FloatMode: 240
; IeeeMode: 1
; LDSByteSize: 0 bytes/workgroup (compile time only)
; SGPRBlocks: 2
; VGPRBlocks: 18
; NumSGPRsForWavesPerEU: 23
; NumVGPRsForWavesPerEU: 149
; Occupancy: 6
; WaveLimiterHint : 1
; COMPUTE_PGM_RSRC2:SCRATCH_EN: 0
; COMPUTE_PGM_RSRC2:USER_SGPR: 6
; COMPUTE_PGM_RSRC2:TRAP_HANDLER: 0
; COMPUTE_PGM_RSRC2:TGID_X_EN: 1
; COMPUTE_PGM_RSRC2:TGID_Y_EN: 0
; COMPUTE_PGM_RSRC2:TGID_Z_EN: 0
; COMPUTE_PGM_RSRC2:TIDIG_COMP_CNT: 0
	.text
	.p2alignl 6, 3214868480
	.fill 48, 4, 3214868480
	.type	__hip_cuid_e3568904f5ea803e,@object ; @__hip_cuid_e3568904f5ea803e
	.section	.bss,"aw",@nobits
	.globl	__hip_cuid_e3568904f5ea803e
__hip_cuid_e3568904f5ea803e:
	.byte	0                               ; 0x0
	.size	__hip_cuid_e3568904f5ea803e, 1

	.ident	"AMD clang version 19.0.0git (https://github.com/RadeonOpenCompute/llvm-project roc-6.4.0 25133 c7fe45cf4b819c5991fe208aaa96edf142730f1d)"
	.section	".note.GNU-stack","",@progbits
	.addrsig
	.addrsig_sym __hip_cuid_e3568904f5ea803e
	.amdgpu_metadata
---
amdhsa.kernels:
  - .args:
      - .actual_access:  read_only
        .address_space:  global
        .offset:         0
        .size:           8
        .value_kind:     global_buffer
      - .offset:         8
        .size:           8
        .value_kind:     by_value
      - .actual_access:  read_only
        .address_space:  global
        .offset:         16
        .size:           8
        .value_kind:     global_buffer
      - .actual_access:  read_only
        .address_space:  global
        .offset:         24
        .size:           8
        .value_kind:     global_buffer
      - .offset:         32
        .size:           8
        .value_kind:     by_value
      - .actual_access:  read_only
        .address_space:  global
        .offset:         40
        .size:           8
        .value_kind:     global_buffer
      - .actual_access:  read_only
        .address_space:  global
        .offset:         48
        .size:           8
        .value_kind:     global_buffer
      - .offset:         56
        .size:           4
        .value_kind:     by_value
      - .actual_access:  read_only
        .address_space:  global
        .offset:         64
        .size:           8
        .value_kind:     global_buffer
      - .actual_access:  read_only
        .address_space:  global
        .offset:         72
        .size:           8
        .value_kind:     global_buffer
      - .address_space:  global
        .offset:         80
        .size:           8
        .value_kind:     global_buffer
    .group_segment_fixed_size: 0
    .kernarg_segment_align: 8
    .kernarg_segment_size: 88
    .language:       OpenCL C
    .language_version:
      - 2
      - 0
    .max_flat_workgroup_size: 198
    .name:           fft_rtc_fwd_len1188_factors_6_11_2_3_3_wgs_198_tpt_66_halfLds_half_ip_CI_unitstride_sbrr_C2R_dirReg
    .private_segment_fixed_size: 0
    .sgpr_count:     23
    .sgpr_spill_count: 0
    .symbol:         fft_rtc_fwd_len1188_factors_6_11_2_3_3_wgs_198_tpt_66_halfLds_half_ip_CI_unitstride_sbrr_C2R_dirReg.kd
    .uniform_work_group_size: 1
    .uses_dynamic_stack: false
    .vgpr_count:     149
    .vgpr_spill_count: 0
    .wavefront_size: 32
    .workgroup_processor_mode: 1
amdhsa.target:   amdgcn-amd-amdhsa--gfx1030
amdhsa.version:
  - 1
  - 2
...

	.end_amdgpu_metadata
